;; amdgpu-corpus repo=ROCm/rocFFT kind=compiled arch=gfx906 opt=O3
	.text
	.amdgcn_target "amdgcn-amd-amdhsa--gfx906"
	.amdhsa_code_object_version 6
	.protected	bluestein_single_back_len770_dim1_dp_op_CI_CI ; -- Begin function bluestein_single_back_len770_dim1_dp_op_CI_CI
	.globl	bluestein_single_back_len770_dim1_dp_op_CI_CI
	.p2align	8
	.type	bluestein_single_back_len770_dim1_dp_op_CI_CI,@function
bluestein_single_back_len770_dim1_dp_op_CI_CI: ; @bluestein_single_back_len770_dim1_dp_op_CI_CI
; %bb.0:
	s_load_dwordx4 s[0:3], s[4:5], 0x28
	v_mul_u32_u24_e32 v1, 0x254, v0
	v_lshrrev_b32_e32 v1, 16, v1
	v_lshl_add_u32 v104, s6, 1, v1
	v_mov_b32_e32 v105, 0
	s_waitcnt lgkmcnt(0)
	v_cmp_gt_u64_e32 vcc, s[0:1], v[104:105]
	s_and_saveexec_b64 s[0:1], vcc
	s_cbranch_execz .LBB0_23
; %bb.1:
	s_load_dwordx2 s[12:13], s[4:5], 0x0
	s_load_dwordx2 s[6:7], s[4:5], 0x38
	v_mul_lo_u16_e32 v2, 0x6e, v1
	v_sub_u16_e32 v149, v0, v2
	v_and_b32_e32 v0, 1, v1
	v_mov_b32_e32 v1, 0x302
	v_cmp_eq_u32_e32 vcc, 1, v0
	v_cndmask_b32_e32 v156, 0, v1, vcc
	s_movk_i32 s0, 0x46
	v_cmp_gt_u16_e64 s[0:1], s0, v149
	v_lshlrev_b32_e32 v150, 4, v149
	v_lshlrev_b32_e32 v151, 4, v156
	s_and_saveexec_b64 s[14:15], s[0:1]
	s_cbranch_execz .LBB0_3
; %bb.2:
	s_load_dwordx2 s[8:9], s[4:5], 0x18
	s_waitcnt lgkmcnt(0)
	s_load_dwordx4 s[8:11], s[8:9], 0x0
	s_waitcnt lgkmcnt(0)
	v_mad_u64_u32 v[0:1], s[16:17], s10, v104, 0
	v_mad_u64_u32 v[2:3], s[16:17], s8, v149, 0
	v_mad_u64_u32 v[4:5], s[10:11], s11, v104, v[1:2]
	v_mad_u64_u32 v[5:6], s[10:11], s9, v149, v[3:4]
	v_mov_b32_e32 v1, v4
	v_lshlrev_b64 v[0:1], 4, v[0:1]
	v_mov_b32_e32 v3, v5
	v_mov_b32_e32 v6, s3
	v_lshlrev_b64 v[2:3], 4, v[2:3]
	v_add_co_u32_e32 v0, vcc, s2, v0
	v_addc_co_u32_e32 v1, vcc, v6, v1, vcc
	v_add_co_u32_e32 v16, vcc, v0, v2
	v_addc_co_u32_e32 v17, vcc, v1, v3, vcc
	v_mov_b32_e32 v0, s13
	v_add_co_u32_e32 v70, vcc, s12, v150
	s_mul_i32 s2, s9, 0x460
	s_mul_hi_u32 s3, s8, 0x460
	v_addc_co_u32_e32 v71, vcc, 0, v0, vcc
	s_add_i32 s2, s3, s2
	s_mul_i32 s3, s8, 0x460
	v_mov_b32_e32 v0, s2
	v_add_co_u32_e32 v18, vcc, s3, v16
	v_addc_co_u32_e32 v19, vcc, v17, v0, vcc
	global_load_dwordx4 v[0:3], v[16:17], off
	global_load_dwordx4 v[4:7], v[18:19], off
	global_load_dwordx4 v[8:11], v150, s[12:13]
	global_load_dwordx4 v[12:15], v150, s[12:13] offset:1120
	v_mov_b32_e32 v16, s2
	v_add_co_u32_e32 v32, vcc, s3, v18
	v_addc_co_u32_e32 v33, vcc, v19, v16, vcc
	v_add_co_u32_e32 v34, vcc, s3, v32
	v_addc_co_u32_e32 v35, vcc, v33, v16, vcc
	global_load_dwordx4 v[16:19], v[32:33], off
	global_load_dwordx4 v[20:23], v[34:35], off
	global_load_dwordx4 v[24:27], v150, s[12:13] offset:2240
	global_load_dwordx4 v[28:31], v150, s[12:13] offset:3360
	v_mov_b32_e32 v32, s2
	v_add_co_u32_e32 v36, vcc, s3, v34
	v_addc_co_u32_e32 v37, vcc, v35, v32, vcc
	s_movk_i32 s8, 0x1000
	v_add_co_u32_e32 v64, vcc, s8, v70
	v_addc_co_u32_e32 v65, vcc, 0, v71, vcc
	v_mov_b32_e32 v38, s2
	v_add_co_u32_e32 v48, vcc, s3, v36
	v_addc_co_u32_e32 v49, vcc, v37, v38, vcc
	v_mov_b32_e32 v50, s2
	;; [unrolled: 3-line block ×3, first 2 shown]
	v_add_co_u32_e32 v66, vcc, s3, v52
	v_addc_co_u32_e32 v67, vcc, v53, v54, vcc
	global_load_dwordx4 v[32:35], v[36:37], off
	s_nop 0
	global_load_dwordx4 v[36:39], v[48:49], off
	global_load_dwordx4 v[40:43], v[64:65], off offset:384
	global_load_dwordx4 v[44:47], v[64:65], off offset:1504
	v_add_co_u32_e32 v68, vcc, s3, v66
	global_load_dwordx4 v[48:51], v[52:53], off
	s_nop 0
	global_load_dwordx4 v[52:55], v[66:67], off
	global_load_dwordx4 v[56:59], v[64:65], off offset:2624
	global_load_dwordx4 v[60:63], v[64:65], off offset:3744
	v_mov_b32_e32 v64, s2
	v_addc_co_u32_e32 v69, vcc, v67, v64, vcc
	s_movk_i32 s8, 0x2000
	v_add_co_u32_e32 v88, vcc, s8, v70
	v_addc_co_u32_e32 v89, vcc, 0, v71, vcc
	v_mov_b32_e32 v70, s2
	v_add_co_u32_e32 v80, vcc, s3, v68
	v_addc_co_u32_e32 v81, vcc, v69, v70, vcc
	global_load_dwordx4 v[64:67], v[68:69], off
	v_mov_b32_e32 v82, s2
	v_add_co_u32_e32 v90, vcc, s3, v80
	global_load_dwordx4 v[68:71], v[80:81], off
	global_load_dwordx4 v[72:75], v[88:89], off offset:768
	global_load_dwordx4 v[76:79], v[88:89], off offset:1888
	v_addc_co_u32_e32 v91, vcc, v81, v82, vcc
	global_load_dwordx4 v[80:83], v[90:91], off
	global_load_dwordx4 v[84:87], v[88:89], off offset:3008
	s_waitcnt vmcnt(19)
	v_mul_f64 v[88:89], v[2:3], v[10:11]
	v_mul_f64 v[10:11], v[0:1], v[10:11]
	s_waitcnt vmcnt(18)
	v_mul_f64 v[90:91], v[6:7], v[14:15]
	v_mul_f64 v[14:15], v[4:5], v[14:15]
	v_fma_f64 v[0:1], v[0:1], v[8:9], v[88:89]
	v_fma_f64 v[2:3], v[2:3], v[8:9], -v[10:11]
	s_waitcnt vmcnt(15)
	v_mul_f64 v[92:93], v[18:19], v[26:27]
	v_mul_f64 v[26:27], v[16:17], v[26:27]
	v_fma_f64 v[4:5], v[4:5], v[12:13], v[90:91]
	v_fma_f64 v[6:7], v[6:7], v[12:13], -v[14:15]
	v_lshl_add_u32 v12, v149, 4, v151
	v_add_u32_e32 v88, v151, v150
	ds_write_b128 v12, v[0:3]
	v_fma_f64 v[8:9], v[16:17], v[24:25], v[92:93]
	v_fma_f64 v[10:11], v[18:19], v[24:25], -v[26:27]
	s_waitcnt vmcnt(14)
	v_mul_f64 v[0:1], v[22:23], v[30:31]
	v_mul_f64 v[2:3], v[20:21], v[30:31]
	ds_write_b128 v88, v[4:7] offset:1120
	ds_write_b128 v88, v[8:11] offset:2240
	v_fma_f64 v[0:1], v[20:21], v[28:29], v[0:1]
	v_fma_f64 v[2:3], v[22:23], v[28:29], -v[2:3]
	s_waitcnt vmcnt(11)
	v_mul_f64 v[4:5], v[34:35], v[42:43]
	v_mul_f64 v[6:7], v[32:33], v[42:43]
	s_waitcnt vmcnt(10)
	v_mul_f64 v[8:9], v[38:39], v[46:47]
	v_mul_f64 v[10:11], v[36:37], v[46:47]
	;; [unrolled: 3-line block ×4, first 2 shown]
	v_fma_f64 v[4:5], v[32:33], v[40:41], v[4:5]
	v_fma_f64 v[6:7], v[34:35], v[40:41], -v[6:7]
	v_fma_f64 v[8:9], v[36:37], v[44:45], v[8:9]
	v_fma_f64 v[10:11], v[38:39], v[44:45], -v[10:11]
	;; [unrolled: 2-line block ×4, first 2 shown]
	s_waitcnt vmcnt(3)
	v_mul_f64 v[20:21], v[66:67], v[74:75]
	v_mul_f64 v[22:23], v[64:65], v[74:75]
	s_waitcnt vmcnt(2)
	v_mul_f64 v[24:25], v[70:71], v[78:79]
	v_mul_f64 v[26:27], v[68:69], v[78:79]
	;; [unrolled: 3-line block ×3, first 2 shown]
	v_fma_f64 v[20:21], v[64:65], v[72:73], v[20:21]
	v_fma_f64 v[22:23], v[66:67], v[72:73], -v[22:23]
	v_fma_f64 v[24:25], v[68:69], v[76:77], v[24:25]
	v_fma_f64 v[26:27], v[70:71], v[76:77], -v[26:27]
	;; [unrolled: 2-line block ×3, first 2 shown]
	ds_write_b128 v88, v[0:3] offset:3360
	ds_write_b128 v88, v[4:7] offset:4480
	;; [unrolled: 1-line block ×8, first 2 shown]
.LBB0_3:
	s_or_b64 exec, exec, s[14:15]
	s_waitcnt lgkmcnt(0)
	s_barrier
	s_waitcnt lgkmcnt(0)
                                        ; implicit-def: $vgpr20_vgpr21
                                        ; implicit-def: $vgpr40_vgpr41
                                        ; implicit-def: $vgpr28_vgpr29
                                        ; implicit-def: $vgpr16_vgpr17
                                        ; implicit-def: $vgpr8_vgpr9
                                        ; implicit-def: $vgpr0_vgpr1
                                        ; implicit-def: $vgpr4_vgpr5
                                        ; implicit-def: $vgpr12_vgpr13
                                        ; implicit-def: $vgpr24_vgpr25
                                        ; implicit-def: $vgpr32_vgpr33
                                        ; implicit-def: $vgpr36_vgpr37
	s_and_saveexec_b64 s[2:3], s[0:1]
	s_cbranch_execz .LBB0_5
; %bb.4:
	v_lshl_add_u32 v36, v156, 4, v150
	ds_read_b128 v[20:23], v36
	ds_read_b128 v[40:43], v36 offset:1120
	ds_read_b128 v[28:31], v36 offset:2240
	;; [unrolled: 1-line block ×10, first 2 shown]
.LBB0_5:
	s_or_b64 exec, exec, s[2:3]
	s_waitcnt lgkmcnt(9)
	v_add_f64 v[46:47], v[22:23], v[42:43]
	v_add_f64 v[44:45], v[20:21], v[40:41]
	s_waitcnt lgkmcnt(0)
	v_add_f64 v[50:51], v[42:43], v[38:39]
	v_add_f64 v[42:43], v[42:43], -v[38:39]
	s_mov_b32 s20, 0xbb3a28a1
	s_mov_b32 s21, 0xbfe82f19
	v_add_f64 v[48:49], v[40:41], v[36:37]
	v_add_f64 v[40:41], v[40:41], -v[36:37]
	v_add_f64 v[46:47], v[46:47], v[30:31]
	v_add_f64 v[44:45], v[44:45], v[28:29]
	s_mov_b32 s16, 0x43842ef
	v_mul_f64 v[64:65], v[42:43], s[20:21]
	s_mov_b32 s18, 0x7f775887
	s_mov_b32 s17, 0xbfefac9e
	;; [unrolled: 1-line block ×3, first 2 shown]
	v_mul_f64 v[62:63], v[40:41], s[16:17]
	v_add_f64 v[46:47], v[46:47], v[18:19]
	v_add_f64 v[44:45], v[44:45], v[16:17]
	v_mul_f64 v[66:67], v[40:41], s[20:21]
	v_fma_f64 v[80:81], v[48:49], s[18:19], -v[64:65]
	s_mov_b32 s22, 0xf8bb580b
	s_mov_b32 s14, 0x640f44db
	;; [unrolled: 1-line block ×4, first 2 shown]
	v_add_f64 v[46:47], v[46:47], v[10:11]
	v_add_f64 v[44:45], v[44:45], v[8:9]
	v_mul_f64 v[54:55], v[40:41], s[22:23]
	v_fma_f64 v[78:79], v[50:51], s[14:15], v[62:63]
	v_fma_f64 v[62:63], v[50:51], s[14:15], -v[62:63]
	v_fma_f64 v[82:83], v[50:51], s[18:19], v[66:67]
	s_mov_b32 s10, 0x8764f0ba
	s_mov_b32 s24, 0xfd768dbf
	v_add_f64 v[46:47], v[46:47], v[2:3]
	v_add_f64 v[44:45], v[44:45], v[0:1]
	s_mov_b32 s11, 0x3feaeb8c
	s_mov_b32 s9, 0xbfed1bb4
	;; [unrolled: 1-line block ×4, first 2 shown]
	v_mul_f64 v[52:53], v[42:43], s[22:23]
	v_mul_f64 v[56:57], v[42:43], s[8:9]
	v_add_f64 v[46:47], v[46:47], v[6:7]
	v_add_f64 v[44:45], v[44:45], v[4:5]
	v_mul_f64 v[58:59], v[40:41], s[8:9]
	v_fma_f64 v[70:71], v[50:51], s[10:11], v[54:55]
	v_fma_f64 v[54:55], v[50:51], s[10:11], -v[54:55]
	v_mul_f64 v[40:41], v[40:41], s[24:25]
	s_mov_b32 s2, 0xd9c712b6
	s_mov_b32 s26, 0x9bcd5057
	v_add_f64 v[46:47], v[46:47], v[14:15]
	v_add_f64 v[44:45], v[44:45], v[12:13]
	s_mov_b32 s3, 0x3fda9628
	s_mov_b32 s27, 0xbfeeb42a
	v_mul_f64 v[60:61], v[42:43], s[16:17]
	v_fma_f64 v[68:69], v[48:49], s[10:11], -v[52:53]
	v_fma_f64 v[52:53], v[48:49], s[10:11], v[52:53]
	v_fma_f64 v[72:73], v[48:49], s[2:3], -v[56:57]
	v_add_f64 v[46:47], v[46:47], v[26:27]
	v_add_f64 v[44:45], v[44:45], v[24:25]
	v_fma_f64 v[74:75], v[50:51], s[2:3], v[58:59]
	v_fma_f64 v[58:59], v[50:51], s[2:3], -v[58:59]
	v_add_f64 v[54:55], v[22:23], v[54:55]
	v_mul_f64 v[42:43], v[42:43], s[24:25]
	v_fma_f64 v[66:67], v[50:51], s[18:19], -v[66:67]
	v_fma_f64 v[86:87], v[50:51], s[26:27], v[40:41]
	v_add_f64 v[46:47], v[46:47], v[34:35]
	v_add_f64 v[44:45], v[44:45], v[32:33]
	v_fma_f64 v[40:41], v[50:51], s[26:27], -v[40:41]
	s_mov_b32 s35, 0x3fd207e7
	s_mov_b32 s34, s24
	v_fma_f64 v[56:57], v[48:49], s[2:3], v[56:57]
	v_fma_f64 v[76:77], v[48:49], s[14:15], -v[60:61]
	v_fma_f64 v[60:61], v[48:49], s[14:15], v[60:61]
	v_add_f64 v[38:39], v[46:47], v[38:39]
	v_add_f64 v[46:47], v[20:21], v[80:81]
	v_add_f64 v[80:81], v[28:29], -v[32:33]
	v_add_f64 v[36:37], v[44:45], v[36:37]
	v_add_f64 v[44:45], v[22:23], v[62:63]
	;; [unrolled: 1-line block ×3, first 2 shown]
	v_add_f64 v[82:83], v[30:31], -v[34:35]
	v_add_f64 v[30:31], v[30:31], v[34:35]
	v_add_f64 v[28:29], v[28:29], v[32:33]
	v_add_f64 v[68:69], v[20:21], v[68:69]
	v_mul_f64 v[34:35], v[80:81], s[8:9]
	v_add_f64 v[70:71], v[22:23], v[70:71]
	v_add_f64 v[52:53], v[20:21], v[52:53]
	;; [unrolled: 1-line block ×3, first 2 shown]
	v_mul_f64 v[32:33], v[82:83], s[8:9]
	v_mul_f64 v[88:89], v[82:83], s[20:21]
	v_fma_f64 v[64:65], v[48:49], s[18:19], v[64:65]
	v_fma_f64 v[84:85], v[48:49], s[26:27], -v[42:43]
	v_fma_f64 v[50:51], v[30:31], s[2:3], v[34:35]
	v_fma_f64 v[34:35], v[30:31], s[2:3], -v[34:35]
	v_fma_f64 v[42:43], v[48:49], s[26:27], v[42:43]
	v_mul_f64 v[92:93], v[80:81], s[20:21]
	v_fma_f64 v[48:49], v[28:29], s[2:3], -v[32:33]
	v_fma_f64 v[32:33], v[28:29], s[2:3], v[32:33]
	v_fma_f64 v[90:91], v[28:29], s[18:19], -v[88:89]
	s_mov_b32 s31, 0x3fefac9e
	s_mov_b32 s30, s16
	v_add_f64 v[34:35], v[34:35], v[54:55]
	v_mul_f64 v[54:55], v[80:81], s[34:35]
	v_add_f64 v[74:75], v[22:23], v[74:75]
	v_add_f64 v[56:57], v[20:21], v[56:57]
	v_add_f64 v[58:59], v[22:23], v[58:59]
	v_add_f64 v[76:77], v[20:21], v[76:77]
	v_add_f64 v[78:79], v[22:23], v[78:79]
	v_add_f64 v[60:61], v[20:21], v[60:61]
	v_add_f64 v[64:65], v[20:21], v[64:65]
	v_add_f64 v[66:67], v[22:23], v[66:67]
	v_add_f64 v[84:85], v[20:21], v[84:85]
	v_add_f64 v[86:87], v[22:23], v[86:87]
	v_add_f64 v[20:21], v[20:21], v[42:43]
	v_add_f64 v[22:23], v[22:23], v[40:41]
	v_add_f64 v[40:41], v[48:49], v[68:69]
	v_add_f64 v[42:43], v[50:51], v[70:71]
	v_add_f64 v[32:33], v[32:33], v[52:53]
	v_add_f64 v[48:49], v[90:91], v[72:73]
	v_fma_f64 v[50:51], v[30:31], s[18:19], v[92:93]
	v_mul_f64 v[52:53], v[82:83], s[34:35]
	v_fma_f64 v[70:71], v[28:29], s[18:19], v[88:89]
	v_fma_f64 v[72:73], v[30:31], s[18:19], -v[92:93]
	v_fma_f64 v[88:89], v[30:31], s[26:27], v[54:55]
	v_fma_f64 v[54:55], v[30:31], s[26:27], -v[54:55]
	v_mul_f64 v[92:93], v[80:81], s[30:31]
	v_mul_f64 v[68:69], v[82:83], s[30:31]
	v_add_f64 v[50:51], v[50:51], v[74:75]
	v_fma_f64 v[74:75], v[28:29], s[26:27], -v[52:53]
	v_fma_f64 v[52:53], v[28:29], s[26:27], v[52:53]
	s_mov_b32 s29, 0x3fe14ced
	s_mov_b32 s28, s22
	v_add_f64 v[44:45], v[54:55], v[44:45]
	v_fma_f64 v[54:55], v[30:31], s[14:15], v[92:93]
	v_fma_f64 v[90:91], v[28:29], s[14:15], -v[68:69]
	v_add_f64 v[56:57], v[70:71], v[56:57]
	v_add_f64 v[70:71], v[74:75], v[76:77]
	;; [unrolled: 1-line block ×3, first 2 shown]
	v_fma_f64 v[60:61], v[28:29], s[14:15], v[68:69]
	v_add_f64 v[68:69], v[18:19], -v[26:27]
	v_mul_f64 v[76:77], v[80:81], s[28:29]
	v_add_f64 v[54:55], v[54:55], v[62:63]
	v_add_f64 v[62:63], v[16:17], -v[24:25]
	v_add_f64 v[58:59], v[72:73], v[58:59]
	v_add_f64 v[72:73], v[88:89], v[78:79]
	v_mul_f64 v[74:75], v[82:83], s[28:29]
	v_fma_f64 v[78:79], v[30:31], s[14:15], -v[92:93]
	v_add_f64 v[16:17], v[16:17], v[24:25]
	v_mul_f64 v[24:25], v[68:69], s[16:17]
	v_fma_f64 v[80:81], v[30:31], s[10:11], v[76:77]
	v_add_f64 v[18:19], v[18:19], v[26:27]
	v_mul_f64 v[26:27], v[62:63], s[16:17]
	v_add_f64 v[60:61], v[60:61], v[64:65]
	v_fma_f64 v[64:65], v[28:29], s[10:11], -v[74:75]
	v_add_f64 v[66:67], v[78:79], v[66:67]
	v_fma_f64 v[28:29], v[28:29], s[10:11], v[74:75]
	v_fma_f64 v[30:31], v[30:31], s[10:11], -v[76:77]
	v_fma_f64 v[74:75], v[16:17], s[14:15], -v[24:25]
	v_add_f64 v[76:77], v[80:81], v[86:87]
	v_mul_f64 v[78:79], v[68:69], s[34:35]
	v_mul_f64 v[80:81], v[62:63], s[34:35]
	v_fma_f64 v[82:83], v[18:19], s[14:15], v[26:27]
	v_fma_f64 v[26:27], v[18:19], s[14:15], -v[26:27]
	v_add_f64 v[20:21], v[28:29], v[20:21]
	v_add_f64 v[22:23], v[30:31], v[22:23]
	;; [unrolled: 1-line block ×3, first 2 shown]
	v_fma_f64 v[24:25], v[16:17], s[14:15], v[24:25]
	v_fma_f64 v[30:31], v[16:17], s[26:27], -v[78:79]
	v_fma_f64 v[40:41], v[18:19], s[26:27], v[80:81]
	s_mov_b32 s9, 0x3fed1bb4
	v_add_f64 v[26:27], v[26:27], v[34:35]
	v_fma_f64 v[34:35], v[16:17], s[26:27], v[78:79]
	v_mul_f64 v[78:79], v[68:69], s[22:23]
	v_add_f64 v[46:47], v[90:91], v[46:47]
	v_add_f64 v[42:43], v[82:83], v[42:43]
	v_mul_f64 v[82:83], v[62:63], s[8:9]
	v_add_f64 v[24:25], v[24:25], v[32:33]
	v_add_f64 v[32:33], v[40:41], v[50:51]
	v_fma_f64 v[40:41], v[18:19], s[26:27], -v[80:81]
	v_mul_f64 v[80:81], v[62:63], s[22:23]
	v_add_f64 v[34:35], v[34:35], v[56:57]
	v_fma_f64 v[56:57], v[16:17], s[10:11], -v[78:79]
	v_mul_f64 v[74:75], v[68:69], s[8:9]
	v_fma_f64 v[50:51], v[18:19], s[2:3], v[82:83]
	v_add_f64 v[30:31], v[30:31], v[48:49]
	v_mul_f64 v[68:69], v[68:69], s[20:21]
	v_add_f64 v[40:41], v[40:41], v[58:59]
	v_fma_f64 v[58:59], v[18:19], s[10:11], v[80:81]
	v_add_f64 v[64:65], v[64:65], v[84:85]
	v_add_f64 v[46:47], v[56:57], v[46:47]
	v_add_f64 v[56:57], v[10:11], -v[14:15]
	v_fma_f64 v[48:49], v[16:17], s[2:3], -v[74:75]
	v_fma_f64 v[74:75], v[16:17], s[2:3], v[74:75]
	v_add_f64 v[50:51], v[50:51], v[72:73]
	v_fma_f64 v[72:73], v[18:19], s[10:11], -v[80:81]
	v_add_f64 v[54:55], v[58:59], v[54:55]
	v_add_f64 v[58:59], v[8:9], -v[12:13]
	v_add_f64 v[8:9], v[8:9], v[12:13]
	v_mul_f64 v[12:13], v[56:57], s[20:21]
	v_mul_f64 v[62:63], v[62:63], s[20:21]
	v_add_f64 v[52:53], v[74:75], v[52:53]
	v_fma_f64 v[74:75], v[16:17], s[18:19], -v[68:69]
	v_add_f64 v[66:67], v[72:73], v[66:67]
	v_add_f64 v[10:11], v[10:11], v[14:15]
	v_mul_f64 v[14:15], v[58:59], s[20:21]
	v_fma_f64 v[82:83], v[18:19], s[2:3], -v[82:83]
	v_fma_f64 v[72:73], v[8:9], s[18:19], -v[12:13]
	v_fma_f64 v[12:13], v[8:9], s[18:19], v[12:13]
	v_add_f64 v[48:49], v[48:49], v[70:71]
	v_fma_f64 v[70:71], v[16:17], s[10:11], v[78:79]
	v_fma_f64 v[78:79], v[18:19], s[18:19], v[62:63]
	v_add_f64 v[64:65], v[74:75], v[64:65]
	v_fma_f64 v[16:17], v[16:17], s[18:19], v[68:69]
	v_fma_f64 v[18:19], v[18:19], s[18:19], -v[62:63]
	v_mul_f64 v[62:63], v[56:57], s[30:31]
	v_fma_f64 v[74:75], v[10:11], s[18:19], v[14:15]
	v_fma_f64 v[14:15], v[10:11], s[18:19], -v[14:15]
	v_add_f64 v[12:13], v[12:13], v[24:25]
	v_mul_f64 v[24:25], v[56:57], s[22:23]
	v_mul_f64 v[68:69], v[58:59], s[30:31]
	v_add_f64 v[16:17], v[16:17], v[20:21]
	v_add_f64 v[28:29], v[72:73], v[28:29]
	v_fma_f64 v[20:21], v[8:9], s[14:15], -v[62:63]
	v_add_f64 v[44:45], v[82:83], v[44:45]
	v_add_f64 v[14:15], v[14:15], v[26:27]
	v_mul_f64 v[26:27], v[58:59], s[22:23]
	v_fma_f64 v[72:73], v[8:9], s[10:11], -v[24:25]
	v_add_f64 v[18:19], v[18:19], v[22:23]
	v_fma_f64 v[22:23], v[10:11], s[14:15], v[68:69]
	v_add_f64 v[42:43], v[74:75], v[42:43]
	v_add_f64 v[20:21], v[20:21], v[30:31]
	v_mul_f64 v[30:31], v[56:57], s[24:25]
	v_fma_f64 v[68:69], v[10:11], s[14:15], -v[68:69]
	v_fma_f64 v[74:75], v[10:11], s[10:11], v[26:27]
	v_fma_f64 v[26:27], v[10:11], s[10:11], -v[26:27]
	v_add_f64 v[48:49], v[72:73], v[48:49]
	v_add_f64 v[72:73], v[2:3], -v[6:7]
	v_add_f64 v[60:61], v[70:71], v[60:61]
	v_add_f64 v[70:71], v[78:79], v[76:77]
	;; [unrolled: 1-line block ×3, first 2 shown]
	v_mul_f64 v[32:33], v[58:59], s[24:25]
	v_fma_f64 v[24:25], v[8:9], s[10:11], v[24:25]
	v_fma_f64 v[76:77], v[8:9], s[26:27], -v[30:31]
	v_add_f64 v[68:69], v[68:69], v[40:41]
	v_add_f64 v[50:51], v[74:75], v[50:51]
	;; [unrolled: 1-line block ×3, first 2 shown]
	v_add_f64 v[74:75], v[0:1], -v[4:5]
	v_mul_f64 v[40:41], v[56:57], s[8:9]
	v_mul_f64 v[44:45], v[58:59], s[8:9]
	v_add_f64 v[0:1], v[0:1], v[4:5]
	v_mul_f64 v[4:5], v[72:73], s[24:25]
	v_fma_f64 v[62:63], v[8:9], s[14:15], v[62:63]
	v_fma_f64 v[78:79], v[10:11], s[26:27], v[32:33]
	v_add_f64 v[24:25], v[24:25], v[52:53]
	v_add_f64 v[52:53], v[76:77], v[46:47]
	v_fma_f64 v[30:31], v[8:9], s[26:27], v[30:31]
	v_fma_f64 v[32:33], v[10:11], s[26:27], -v[32:33]
	v_add_f64 v[2:3], v[2:3], v[6:7]
	v_mul_f64 v[6:7], v[74:75], s[24:25]
	v_fma_f64 v[46:47], v[8:9], s[2:3], -v[40:41]
	v_fma_f64 v[56:57], v[10:11], s[2:3], v[44:45]
	v_fma_f64 v[8:9], v[8:9], s[2:3], v[40:41]
	v_fma_f64 v[40:41], v[0:1], s[26:27], -v[4:5]
	v_fma_f64 v[10:11], v[10:11], s[2:3], -v[44:45]
	v_add_f64 v[32:33], v[32:33], v[66:67]
	v_fma_f64 v[4:5], v[0:1], s[26:27], v[4:5]
	v_fma_f64 v[44:45], v[2:3], s[26:27], v[6:7]
	v_add_f64 v[64:65], v[46:47], v[64:65]
	v_add_f64 v[66:67], v[56:57], v[70:71]
	v_mul_f64 v[46:47], v[72:73], s[28:29]
	v_mul_f64 v[56:57], v[74:75], s[28:29]
	v_add_f64 v[40:41], v[40:41], v[28:29]
	v_fma_f64 v[6:7], v[2:3], s[26:27], -v[6:7]
	v_mul_f64 v[28:29], v[72:73], s[20:21]
	v_mul_f64 v[70:71], v[74:75], s[20:21]
	v_add_f64 v[34:35], v[62:63], v[34:35]
	v_add_f64 v[30:31], v[30:31], v[60:61]
	;; [unrolled: 1-line block ×4, first 2 shown]
	v_fma_f64 v[16:17], v[0:1], s[10:11], -v[46:47]
	v_fma_f64 v[18:19], v[2:3], s[10:11], v[56:57]
	v_add_f64 v[60:61], v[4:5], v[12:13]
	v_add_f64 v[62:63], v[6:7], v[14:15]
	v_fma_f64 v[4:5], v[0:1], s[18:19], -v[28:29]
	v_fma_f64 v[6:7], v[2:3], s[18:19], v[70:71]
	v_add_f64 v[42:43], v[44:45], v[42:43]
	v_fma_f64 v[58:59], v[0:1], s[10:11], v[46:47]
	v_add_f64 v[44:45], v[16:17], v[20:21]
	v_add_f64 v[46:47], v[18:19], v[22:23]
	v_fma_f64 v[12:13], v[0:1], s[18:19], v[28:29]
	v_fma_f64 v[14:15], v[2:3], s[18:19], -v[70:71]
	v_mul_f64 v[16:17], v[72:73], s[8:9]
	v_mul_f64 v[18:19], v[74:75], s[8:9]
	v_add_f64 v[48:49], v[4:5], v[48:49]
	v_add_f64 v[50:51], v[6:7], v[50:51]
	v_mul_f64 v[4:5], v[72:73], s[16:17]
	v_mul_f64 v[6:7], v[74:75], s[16:17]
	v_add_f64 v[54:55], v[78:79], v[54:55]
	v_fma_f64 v[76:77], v[2:3], s[10:11], -v[56:57]
	v_add_f64 v[72:73], v[12:13], v[24:25]
	v_add_f64 v[74:75], v[14:15], v[26:27]
	v_fma_f64 v[12:13], v[0:1], s[2:3], -v[16:17]
	v_fma_f64 v[14:15], v[2:3], s[2:3], v[18:19]
	v_fma_f64 v[16:17], v[0:1], s[2:3], v[16:17]
	v_fma_f64 v[18:19], v[2:3], s[2:3], -v[18:19]
	v_fma_f64 v[20:21], v[0:1], s[14:15], -v[4:5]
	v_fma_f64 v[22:23], v[2:3], s[14:15], v[6:7]
	v_fma_f64 v[0:1], v[0:1], s[14:15], v[4:5]
	v_fma_f64 v[2:3], v[2:3], s[14:15], -v[6:7]
	v_add_f64 v[56:57], v[58:59], v[34:35]
	v_add_f64 v[58:59], v[76:77], v[68:69]
	;; [unrolled: 1-line block ×10, first 2 shown]
	s_load_dwordx2 s[14:15], s[4:5], 0x8
	v_mul_lo_u16_e32 v155, 11, v149
	s_waitcnt lgkmcnt(0)
	s_barrier
	s_and_saveexec_b64 s[2:3], s[0:1]
	s_cbranch_execz .LBB0_7
; %bb.6:
	v_add_lshl_u32 v0, v156, v155, 4
	ds_write_b128 v0, v[36:39]
	ds_write_b128 v0, v[40:43] offset:16
	ds_write_b128 v0, v[44:47] offset:32
	;; [unrolled: 1-line block ×10, first 2 shown]
.LBB0_7:
	s_or_b64 exec, exec, s[2:3]
	s_load_dwordx2 s[4:5], s[4:5], 0x20
	s_movk_i32 s2, 0x4d
	v_cmp_gt_u16_e64 s[2:3], s2, v149
	v_add_lshl_u32 v152, v156, v149, 4
	s_waitcnt lgkmcnt(0)
	s_barrier
	s_and_saveexec_b64 s[8:9], s[2:3]
	s_cbranch_execz .LBB0_9
; %bb.8:
	ds_read_b128 v[36:39], v152
	ds_read_b128 v[40:43], v152 offset:1232
	ds_read_b128 v[44:47], v152 offset:2464
	;; [unrolled: 1-line block ×9, first 2 shown]
.LBB0_9:
	s_or_b64 exec, exec, s[8:9]
	s_movk_i32 s8, 0x75
	v_mul_lo_u16_sdwa v0, v149, s8 dst_sel:DWORD dst_unused:UNUSED_PAD src0_sel:BYTE_0 src1_sel:DWORD
	v_sub_u16_sdwa v1, v149, v0 dst_sel:DWORD dst_unused:UNUSED_PAD src0_sel:DWORD src1_sel:BYTE_1
	v_lshrrev_b16_e32 v1, 1, v1
	v_and_b32_e32 v1, 0x7f, v1
	v_add_u16_sdwa v0, v1, v0 dst_sel:DWORD dst_unused:UNUSED_PAD src0_sel:DWORD src1_sel:BYTE_1
	v_lshrrev_b16_e32 v153, 3, v0
	v_mul_lo_u16_e32 v0, 11, v153
	v_sub_u16_e32 v0, v149, v0
	v_and_b32_e32 v154, 0xff, v0
	v_mov_b32_e32 v0, s14
	s_movk_i32 s8, 0x90
	v_mov_b32_e32 v1, s15
	v_mad_u64_u32 v[80:81], s[8:9], v154, s8, v[0:1]
	global_load_dwordx4 v[0:3], v[80:81], off
	global_load_dwordx4 v[20:23], v[80:81], off offset:16
	global_load_dwordx4 v[4:7], v[80:81], off offset:32
	;; [unrolled: 1-line block ×8, first 2 shown]
	s_mov_b32 s16, 0x134454ff
	s_mov_b32 s17, 0x3fee6f0e
	;; [unrolled: 1-line block ×12, first 2 shown]
	s_waitcnt vmcnt(0) lgkmcnt(0)
	s_barrier
	v_mul_f64 v[80:81], v[42:43], v[2:3]
	v_mul_f64 v[82:83], v[40:41], v[2:3]
	;; [unrolled: 1-line block ×18, first 2 shown]
	v_fma_f64 v[80:81], v[40:41], v[0:1], -v[80:81]
	v_fma_f64 v[92:93], v[42:43], v[0:1], v[82:83]
	v_fma_f64 v[90:91], v[44:45], v[20:21], -v[84:85]
	v_fma_f64 v[96:97], v[46:47], v[20:21], v[86:87]
	;; [unrolled: 2-line block ×5, first 2 shown]
	v_fma_f64 v[40:41], v[74:75], v[32:33], v[117:118]
	v_fma_f64 v[52:53], v[70:71], v[24:25], v[109:110]
	v_fma_f64 v[48:49], v[68:69], v[24:25], -v[107:108]
	v_fma_f64 v[42:43], v[72:73], v[32:33], -v[115:116]
	;; [unrolled: 1-line block ×3, first 2 shown]
	v_fma_f64 v[76:77], v[78:79], v[12:13], v[113:114]
	v_fma_f64 v[44:45], v[56:57], v[28:29], -v[119:120]
	v_fma_f64 v[46:47], v[58:59], v[28:29], v[121:122]
	v_add_f64 v[64:65], v[90:91], -v[82:83]
	v_add_f64 v[70:71], v[82:83], -v[90:91]
	;; [unrolled: 1-line block ×4, first 2 shown]
	v_add_f64 v[68:69], v[90:91], v[42:43]
	v_add_f64 v[72:73], v[48:49], -v[42:43]
	v_add_f64 v[102:103], v[40:41], -v[52:53]
	v_add_f64 v[105:106], v[96:97], v[40:41]
	v_add_f64 v[121:122], v[86:87], v[44:45]
	;; [unrolled: 1-line block ×5, first 2 shown]
	v_add_f64 v[58:59], v[84:85], -v[52:53]
	v_add_f64 v[98:99], v[82:83], -v[48:49]
	;; [unrolled: 1-line block ×14, first 2 shown]
	v_fma_f64 v[68:69], v[68:69], -0.5, v[36:37]
	v_add_f64 v[147:148], v[64:65], v[66:67]
	v_add_f64 v[64:65], v[70:71], v[72:73]
	;; [unrolled: 1-line block ×3, first 2 shown]
	v_fma_f64 v[70:71], v[105:106], -0.5, v[38:39]
	v_fma_f64 v[74:75], v[121:122], -0.5, v[80:81]
	;; [unrolled: 1-line block ×5, first 2 shown]
	v_add_f64 v[56:57], v[96:97], -v[40:41]
	v_add_f64 v[78:79], v[90:91], -v[42:43]
	;; [unrolled: 1-line block ×4, first 2 shown]
	v_add_f64 v[157:158], v[82:83], v[48:49]
	v_add_f64 v[159:160], v[84:85], v[52:53]
	;; [unrolled: 1-line block ×6, first 2 shown]
	v_fma_f64 v[105:106], v[58:59], s[18:19], v[68:69]
	v_fma_f64 v[68:69], v[58:59], s[16:17], v[68:69]
	v_fma_f64 v[113:114], v[98:99], s[16:17], v[70:71]
	v_fma_f64 v[70:71], v[98:99], s[18:19], v[70:71]
	v_fma_f64 v[115:116], v[100:101], s[18:19], v[74:75]
	v_fma_f64 v[74:75], v[100:101], s[16:17], v[74:75]
	v_fma_f64 v[117:118], v[109:110], s[16:17], v[102:103]
	v_fma_f64 v[102:103], v[109:110], s[18:19], v[102:103]
	v_fma_f64 v[123:124], v[107:108], s[18:19], v[145:146]
	v_fma_f64 v[127:128], v[119:120], s[16:17], v[143:144]
	v_add_f64 v[111:112], v[131:132], v[133:134]
	v_fma_f64 v[121:122], v[157:158], -0.5, v[36:37]
	v_fma_f64 v[129:130], v[159:160], -0.5, v[38:39]
	v_fma_f64 v[105:106], v[56:57], s[8:9], v[105:106]
	v_fma_f64 v[68:69], v[56:57], s[20:21], v[68:69]
	;; [unrolled: 1-line block ×22, first 2 shown]
	v_mul_f64 v[111:112], v[64:65], s[16:17]
	v_mul_f64 v[113:114], v[68:69], s[18:19]
	;; [unrolled: 1-line block ×4, first 2 shown]
	v_fma_f64 v[157:158], v[58:59], s[20:21], v[131:132]
	v_fma_f64 v[159:160], v[98:99], s[8:9], v[133:134]
	v_mul_f64 v[135:136], v[66:67], s[22:23]
	v_mul_f64 v[137:138], v[70:71], s[22:23]
	v_fma_f64 v[111:112], v[68:69], s[10:11], v[111:112]
	v_fma_f64 v[131:132], v[64:65], s[10:11], v[113:114]
	v_fma_f64 v[113:114], v[74:75], s[16:17], -v[115:116]
	v_fma_f64 v[133:134], v[72:73], s[18:19], -v[117:118]
	v_fma_f64 v[117:118], v[147:148], s[10:11], v[157:158]
	v_fma_f64 v[115:116], v[70:71], s[8:9], -v[135:136]
	v_fma_f64 v[135:136], v[66:67], s[20:21], -v[137:138]
	v_fma_f64 v[137:138], v[139:140], s[10:11], v[159:160]
	v_add_f64 v[64:65], v[102:103], -v[111:112]
	v_add_f64 v[66:67], v[123:124], -v[131:132]
	;; [unrolled: 1-line block ×6, first 2 shown]
	s_and_saveexec_b64 s[18:19], s[2:3]
	s_cbranch_execz .LBB0_11
; %bb.10:
	v_mul_f64 v[107:108], v[107:108], s[16:17]
	v_mul_f64 v[119:120], v[119:120], s[16:17]
	;; [unrolled: 1-line block ×5, first 2 shown]
	v_add_f64 v[38:39], v[38:39], v[96:97]
	v_add_f64 v[92:93], v[92:93], v[94:95]
	v_add_f64 v[36:37], v[36:37], v[90:91]
	v_add_f64 v[107:108], v[145:146], v[107:108]
	v_add_f64 v[119:120], v[143:144], -v[119:120]
	v_add_f64 v[80:81], v[80:81], v[86:87]
	v_mul_f64 v[56:57], v[56:57], s[16:17]
	v_mul_f64 v[78:79], v[78:79], s[16:17]
	;; [unrolled: 1-line block ×3, first 2 shown]
	v_add_f64 v[38:39], v[38:39], v[84:85]
	v_add_f64 v[84:85], v[92:93], v[88:89]
	;; [unrolled: 1-line block ×3, first 2 shown]
	v_add_f64 v[94:95], v[119:120], -v[109:110]
	v_add_f64 v[36:37], v[36:37], v[82:83]
	v_add_f64 v[54:55], v[80:81], v[54:55]
	v_mul_f64 v[58:59], v[58:59], s[8:9]
	v_mul_f64 v[98:99], v[98:99], s[8:9]
	v_add_f64 v[78:79], v[129:130], -v[78:79]
	v_add_f64 v[56:57], v[121:122], v[56:57]
	v_add_f64 v[82:83], v[141:142], v[90:91]
	;; [unrolled: 1-line block ×7, first 2 shown]
	v_mul_f64 v[147:148], v[147:148], s[10:11]
	v_mul_f64 v[139:140], v[139:140], s[10:11]
	;; [unrolled: 1-line block ×3, first 2 shown]
	v_add_f64 v[78:79], v[78:79], -v[98:99]
	v_add_f64 v[54:55], v[58:59], v[56:57]
	v_mul_f64 v[56:57], v[80:81], s[8:9]
	v_add_f64 v[76:77], v[38:39], v[40:41]
	v_add_f64 v[52:53], v[52:53], v[46:47]
	;; [unrolled: 1-line block ×4, first 2 shown]
	v_fma_f64 v[48:49], v[80:81], s[22:23], -v[48:49]
	v_add_f64 v[80:81], v[50:51], v[44:45]
	v_add_f64 v[58:59], v[139:140], v[78:79]
	;; [unrolled: 1-line block ×3, first 2 shown]
	v_fma_f64 v[56:57], v[82:83], s[22:23], v[56:57]
	v_add_f64 v[42:43], v[76:77], -v[52:53]
	v_add_f64 v[78:79], v[76:77], v[52:53]
	v_add_f64 v[54:55], v[123:124], v[131:132]
	;; [unrolled: 1-line block ×4, first 2 shown]
	v_add_f64 v[46:47], v[58:59], -v[48:49]
	v_add_f64 v[58:59], v[58:59], v[48:49]
	v_add_f64 v[44:45], v[84:85], -v[56:57]
	v_add_f64 v[56:57], v[84:85], v[56:57]
	v_add_f64 v[50:51], v[127:128], v[133:134]
	;; [unrolled: 1-line block ×3, first 2 shown]
	v_add_f64 v[40:41], v[36:37], -v[80:81]
	v_add_f64 v[36:37], v[117:118], v[115:116]
	v_mul_u32_u24_e32 v80, 0x6e, v153
	v_add_u32_e32 v80, v80, v154
	v_add_lshl_u32 v80, v156, v80, 4
	ds_write_b128 v80, v[76:79]
	ds_write_b128 v80, v[56:59] offset:176
	ds_write_b128 v80, v[52:55] offset:352
	;; [unrolled: 1-line block ×9, first 2 shown]
.LBB0_11:
	s_or_b64 exec, exec, s[18:19]
	v_mov_b32_e32 v37, s15
	s_load_dwordx4 s[8:11], s[4:5], 0x0
	s_movk_i32 s4, 0x60
	v_mov_b32_e32 v36, s14
	v_mad_u64_u32 v[76:77], s[4:5], v149, s4, v[36:37]
	s_waitcnt lgkmcnt(0)
	s_barrier
	global_load_dwordx4 v[48:51], v[76:77], off offset:1584
	global_load_dwordx4 v[44:47], v[76:77], off offset:1600
	;; [unrolled: 1-line block ×6, first 2 shown]
	ds_read_b128 v[76:79], v152
	ds_read_b128 v[80:83], v152 offset:1760
	ds_read_b128 v[84:87], v152 offset:3520
	;; [unrolled: 1-line block ×6, first 2 shown]
	s_mov_b32 s14, 0x37e14327
	s_mov_b32 s4, 0x36b3c0b5
	;; [unrolled: 1-line block ×16, first 2 shown]
	v_lshl_add_u32 v145, v149, 4, v151
	s_waitcnt vmcnt(5) lgkmcnt(5)
	v_mul_f64 v[105:106], v[82:83], v[50:51]
	v_mul_f64 v[107:108], v[80:81], v[50:51]
	s_waitcnt vmcnt(4) lgkmcnt(4)
	v_mul_f64 v[109:110], v[86:87], v[46:47]
	v_mul_f64 v[111:112], v[84:85], v[46:47]
	;; [unrolled: 3-line block ×3, first 2 shown]
	s_waitcnt vmcnt(0)
	v_mul_f64 v[125:126], v[98:99], v[58:59]
	v_mul_f64 v[127:128], v[96:97], v[58:59]
	;; [unrolled: 1-line block ×6, first 2 shown]
	v_fma_f64 v[80:81], v[80:81], v[48:49], -v[105:106]
	v_fma_f64 v[82:83], v[82:83], v[48:49], v[107:108]
	v_fma_f64 v[84:85], v[84:85], v[44:45], -v[109:110]
	v_fma_f64 v[86:87], v[86:87], v[44:45], v[111:112]
	;; [unrolled: 2-line block ×6, first 2 shown]
	v_add_f64 v[105:106], v[80:81], v[100:101]
	v_add_f64 v[107:108], v[82:83], v[102:103]
	v_add_f64 v[80:81], v[80:81], -v[100:101]
	v_add_f64 v[82:83], v[82:83], -v[102:103]
	v_add_f64 v[100:101], v[84:85], v[96:97]
	v_add_f64 v[102:103], v[86:87], v[98:99]
	v_add_f64 v[84:85], v[84:85], -v[96:97]
	v_add_f64 v[86:87], v[86:87], -v[98:99]
	;; [unrolled: 4-line block ×4, first 2 shown]
	v_add_f64 v[105:106], v[105:106], -v[96:97]
	v_add_f64 v[107:108], v[107:108], -v[98:99]
	v_add_f64 v[100:101], v[96:97], -v[100:101]
	v_add_f64 v[102:103], v[98:99], -v[102:103]
	v_add_f64 v[113:114], v[88:89], v[84:85]
	v_add_f64 v[115:116], v[90:91], v[86:87]
	v_add_f64 v[117:118], v[88:89], -v[84:85]
	v_add_f64 v[119:120], v[90:91], -v[86:87]
	;; [unrolled: 1-line block ×4, first 2 shown]
	v_add_f64 v[92:93], v[96:97], v[92:93]
	v_add_f64 v[94:95], v[98:99], v[94:95]
	v_add_f64 v[88:89], v[80:81], -v[88:89]
	v_add_f64 v[90:91], v[82:83], -v[90:91]
	v_add_f64 v[80:81], v[113:114], v[80:81]
	v_add_f64 v[82:83], v[115:116], v[82:83]
	v_mul_f64 v[96:97], v[105:106], s[14:15]
	v_mul_f64 v[98:99], v[107:108], s[14:15]
	;; [unrolled: 1-line block ×8, first 2 shown]
	v_add_f64 v[76:77], v[76:77], v[92:93]
	v_add_f64 v[78:79], v[78:79], v[94:95]
	v_fma_f64 v[105:106], v[109:110], s[22:23], -v[105:106]
	v_fma_f64 v[107:108], v[111:112], s[22:23], -v[107:108]
	s_mov_b32 s23, 0xbfe77f67
	v_fma_f64 v[121:122], v[88:89], s[24:25], v[113:114]
	v_fma_f64 v[123:124], v[90:91], s[24:25], v[115:116]
	s_mov_b32 s25, 0xbfd5d0dc
	v_fma_f64 v[100:101], v[100:101], s[4:5], v[96:97]
	v_fma_f64 v[102:103], v[102:103], s[4:5], v[98:99]
	v_fma_f64 v[84:85], v[84:85], s[16:17], -v[113:114]
	v_fma_f64 v[86:87], v[86:87], s[16:17], -v[115:116]
	;; [unrolled: 1-line block ×6, first 2 shown]
	v_fma_f64 v[92:93], v[92:93], s[18:19], v[76:77]
	v_fma_f64 v[94:95], v[94:95], s[18:19], v[78:79]
	;; [unrolled: 1-line block ×8, first 2 shown]
	v_add_f64 v[115:116], v[100:101], v[92:93]
	v_add_f64 v[117:118], v[102:103], v[94:95]
	;; [unrolled: 1-line block ×7, first 2 shown]
	v_add_f64 v[102:103], v[117:118], -v[109:110]
	v_add_f64 v[96:97], v[80:81], v[82:83]
	v_add_f64 v[98:99], v[119:120], -v[113:114]
	v_add_f64 v[92:93], v[88:89], -v[86:87]
	v_add_f64 v[94:95], v[84:85], v[90:91]
	v_add_f64 v[88:89], v[86:87], v[88:89]
	v_add_f64 v[90:91], v[90:91], -v[84:85]
	v_add_f64 v[80:81], v[82:83], -v[80:81]
	v_add_f64 v[82:83], v[113:114], v[119:120]
	v_add_f64 v[84:85], v[115:116], -v[111:112]
	v_add_f64 v[86:87], v[109:110], v[117:118]
	ds_write_b128 v145, v[76:79]
	ds_write_b128 v145, v[100:103] offset:1760
	ds_write_b128 v145, v[96:99] offset:3520
	;; [unrolled: 1-line block ×6, first 2 shown]
	s_waitcnt lgkmcnt(0)
	s_barrier
	s_and_saveexec_b64 s[14:15], s[0:1]
	s_cbranch_execz .LBB0_13
; %bb.12:
	v_mov_b32_e32 v105, s13
	v_add_co_u32_e32 v129, vcc, s12, v150
	v_addc_co_u32_e32 v142, vcc, 0, v105, vcc
	v_add_co_u32_e32 v146, vcc, 0x3020, v129
	v_addc_co_u32_e32 v147, vcc, 0, v142, vcc
	global_load_dwordx4 v[105:108], v[146:147], off offset:1120
	global_load_dwordx4 v[109:112], v[146:147], off offset:2240
	s_movk_i32 s4, 0x4000
	v_add_co_u32_e64 v125, s[4:5], s4, v129
	v_addc_co_u32_e64 v126, s[4:5], 0, v142, s[4:5]
	global_load_dwordx4 v[113:116], v[125:126], off offset:416
	global_load_dwordx4 v[117:120], v[125:126], off offset:1536
	;; [unrolled: 1-line block ×3, first 2 shown]
	s_nop 0
	global_load_dwordx4 v[125:128], v[125:126], off offset:3776
	s_movk_i32 s4, 0x5000
	v_add_co_u32_e32 v141, vcc, 0x3000, v129
	v_add_co_u32_e64 v137, s[4:5], s4, v129
	v_addc_co_u32_e64 v138, s[4:5], 0, v142, s[4:5]
	v_addc_co_u32_e32 v142, vcc, 0, v142, vcc
	global_load_dwordx4 v[129:132], v[137:138], off offset:800
	global_load_dwordx4 v[133:136], v[137:138], off offset:1920
	s_nop 0
	global_load_dwordx4 v[137:140], v[137:138], off offset:3040
	s_nop 0
	;; [unrolled: 2-line block ×3, first 2 shown]
	global_load_dwordx4 v[156:159], v[146:147], off offset:3360
	ds_read_b128 v[160:163], v145
	ds_read_b128 v[164:167], v145 offset:1120
	ds_read_b128 v[168:171], v145 offset:2240
	ds_read_b128 v[172:175], v145 offset:3360
	ds_read_b128 v[176:179], v145 offset:4480
	ds_read_b128 v[180:183], v145 offset:5600
	ds_read_b128 v[184:187], v145 offset:6720
	ds_read_b128 v[188:191], v145 offset:7840
	ds_read_b128 v[192:195], v145 offset:8960
	ds_read_b128 v[196:199], v145 offset:10080
	ds_read_b128 v[200:203], v145 offset:11200
	s_waitcnt vmcnt(10) lgkmcnt(9)
	v_mul_f64 v[146:147], v[166:167], v[107:108]
	v_mul_f64 v[107:108], v[164:165], v[107:108]
	s_waitcnt vmcnt(9) lgkmcnt(8)
	v_mul_f64 v[204:205], v[170:171], v[111:112]
	v_mul_f64 v[111:112], v[168:169], v[111:112]
	;; [unrolled: 3-line block ×6, first 2 shown]
	v_fma_f64 v[164:165], v[164:165], v[105:106], -v[146:147]
	v_fma_f64 v[166:167], v[166:167], v[105:106], v[107:108]
	v_fma_f64 v[105:106], v[168:169], v[109:110], -v[204:205]
	s_waitcnt vmcnt(4) lgkmcnt(2)
	v_mul_f64 v[214:215], v[194:195], v[131:132]
	v_mul_f64 v[131:132], v[192:193], v[131:132]
	s_waitcnt vmcnt(3) lgkmcnt(1)
	v_mul_f64 v[216:217], v[198:199], v[135:136]
	v_mul_f64 v[135:136], v[196:197], v[135:136]
	;; [unrolled: 3-line block ×3, first 2 shown]
	s_waitcnt vmcnt(1)
	v_mul_f64 v[220:221], v[162:163], v[143:144]
	v_mul_f64 v[143:144], v[160:161], v[143:144]
	s_waitcnt vmcnt(0)
	v_mul_f64 v[222:223], v[174:175], v[158:159]
	v_mul_f64 v[158:159], v[172:173], v[158:159]
	v_fma_f64 v[107:108], v[170:171], v[109:110], v[111:112]
	v_fma_f64 v[109:110], v[176:177], v[113:114], -v[206:207]
	v_fma_f64 v[111:112], v[178:179], v[113:114], v[115:116]
	v_fma_f64 v[113:114], v[180:181], v[117:118], -v[208:209]
	;; [unrolled: 2-line block ×9, first 2 shown]
	v_fma_f64 v[143:144], v[174:175], v[156:157], v[158:159]
	ds_write_b128 v145, v[164:167] offset:1120
	ds_write_b128 v145, v[105:108] offset:2240
	ds_write_b128 v145, v[109:112] offset:4480
	ds_write_b128 v145, v[113:116] offset:5600
	ds_write_b128 v145, v[117:120] offset:6720
	ds_write_b128 v145, v[121:124] offset:7840
	ds_write_b128 v145, v[125:128] offset:8960
	ds_write_b128 v145, v[129:132] offset:10080
	ds_write_b128 v145, v[137:140]
	ds_write_b128 v145, v[141:144] offset:3360
	ds_write_b128 v145, v[133:136] offset:11200
.LBB0_13:
	s_or_b64 exec, exec, s[14:15]
	s_waitcnt lgkmcnt(0)
	s_barrier
	s_and_saveexec_b64 s[4:5], s[0:1]
	s_cbranch_execz .LBB0_15
; %bb.14:
	ds_read_b128 v[76:79], v145
	ds_read_b128 v[100:103], v145 offset:1120
	ds_read_b128 v[96:99], v145 offset:2240
	;; [unrolled: 1-line block ×10, first 2 shown]
.LBB0_15:
	s_or_b64 exec, exec, s[4:5]
	s_waitcnt lgkmcnt(9)
	v_add_f64 v[109:110], v[76:77], v[100:101]
	v_add_f64 v[111:112], v[78:79], v[102:103]
	s_waitcnt lgkmcnt(0)
	v_add_f64 v[107:108], v[102:103], v[62:63]
	v_add_f64 v[102:103], v[102:103], -v[62:63]
	s_mov_b32 s20, 0x8eee2c13
	s_mov_b32 s16, 0xd9c712b6
	;; [unrolled: 1-line block ×4, first 2 shown]
	v_add_f64 v[109:110], v[109:110], v[96:97]
	v_add_f64 v[111:112], v[111:112], v[98:99]
	s_mov_b32 s21, 0xbfed1bb4
	s_mov_b32 s17, 0x3fda9628
	;; [unrolled: 1-line block ×4, first 2 shown]
	v_add_f64 v[105:106], v[100:101], v[60:61]
	v_add_f64 v[100:101], v[100:101], -v[60:61]
	v_add_f64 v[109:110], v[109:110], v[92:93]
	v_add_f64 v[111:112], v[111:112], v[94:95]
	v_mul_f64 v[117:118], v[102:103], s[20:21]
	v_mul_f64 v[119:120], v[107:108], s[16:17]
	;; [unrolled: 1-line block ×4, first 2 shown]
	s_mov_b32 s26, 0xf8bb580b
	s_mov_b32 s24, 0x43842ef
	v_add_f64 v[109:110], v[109:110], v[88:89]
	v_add_f64 v[111:112], v[111:112], v[90:91]
	s_mov_b32 s38, 0xfd768dbf
	s_mov_b32 s27, 0xbfe14ced
	;; [unrolled: 1-line block ×6, first 2 shown]
	v_add_f64 v[113:114], v[109:110], v[80:81]
	v_add_f64 v[115:116], v[111:112], v[82:83]
	s_mov_b32 s36, s30
	s_mov_b32 s39, 0xbfd207e7
	v_mul_f64 v[109:110], v[102:103], s[26:27]
	v_mul_f64 v[111:112], v[100:101], s[26:27]
	;; [unrolled: 1-line block ×3, first 2 shown]
	v_fma_f64 v[133:134], v[105:106], s[16:17], v[117:118]
	v_add_f64 v[113:114], v[113:114], v[84:85]
	v_add_f64 v[115:116], v[115:116], v[86:87]
	v_fma_f64 v[135:136], v[100:101], s[22:23], v[119:120]
	v_fma_f64 v[117:118], v[105:106], s[16:17], -v[117:118]
	v_fma_f64 v[119:120], v[100:101], s[20:21], v[119:120]
	v_fma_f64 v[141:142], v[105:106], s[18:19], v[125:126]
	;; [unrolled: 1-line block ×3, first 2 shown]
	v_mul_f64 v[102:103], v[102:103], s[38:39]
	v_add_f64 v[113:114], v[113:114], v[64:65]
	v_add_f64 v[115:116], v[115:116], v[66:67]
	v_add_f64 v[158:159], v[98:99], -v[74:75]
	v_add_f64 v[162:163], v[96:97], -v[72:73]
	s_mov_b32 s4, 0x8764f0ba
	s_mov_b32 s14, 0x640f44db
	;; [unrolled: 1-line block ×4, first 2 shown]
	v_add_f64 v[113:114], v[113:114], v[68:69]
	v_add_f64 v[115:116], v[115:116], v[70:71]
	s_mov_b32 s15, 0xbfc2375f
	s_mov_b32 s35, 0xbfeeb42a
	v_mul_f64 v[123:124], v[107:108], s[14:15]
	v_fma_f64 v[129:130], v[105:106], s[4:5], v[109:110]
	v_fma_f64 v[131:132], v[107:108], s[4:5], -v[111:112]
	v_add_f64 v[146:147], v[76:77], v[117:118]
	v_add_f64 v[113:114], v[113:114], v[72:73]
	;; [unrolled: 1-line block ×4, first 2 shown]
	v_mul_f64 v[160:161], v[107:108], s[34:35]
	v_fma_f64 v[164:165], v[105:106], s[34:35], v[102:103]
	v_add_f64 v[117:118], v[98:99], v[74:75]
	v_add_f64 v[119:120], v[96:97], v[72:73]
	s_mov_b32 s29, 0x3fefac9e
	v_add_f64 v[60:61], v[113:114], v[60:61]
	v_add_f64 v[62:63], v[115:116], v[62:63]
	v_fma_f64 v[113:114], v[105:106], s[18:19], -v[125:126]
	v_fma_f64 v[115:116], v[100:101], s[30:31], v[127:128]
	v_add_f64 v[125:126], v[76:77], v[141:142]
	v_add_f64 v[127:128], v[78:79], v[143:144]
	s_mov_b32 s28, s24
	s_mov_b32 s41, 0x3fd207e7
	;; [unrolled: 1-line block ×3, first 2 shown]
	v_fma_f64 v[139:140], v[100:101], s[28:29], v[123:124]
	v_add_f64 v[141:142], v[76:77], v[113:114]
	v_add_f64 v[143:144], v[78:79], v[115:116]
	v_mul_f64 v[113:114], v[158:159], s[20:21]
	v_mul_f64 v[115:116], v[162:163], s[20:21]
	v_fma_f64 v[123:124], v[100:101], s[24:25], v[123:124]
	v_add_f64 v[129:130], v[76:77], v[129:130]
	v_add_f64 v[131:132], v[78:79], v[131:132]
	v_fma_f64 v[72:73], v[100:101], s[40:41], v[160:161]
	v_mul_f64 v[74:75], v[158:159], s[30:31]
	v_mul_f64 v[96:97], v[117:118], s[18:19]
	v_fma_f64 v[98:99], v[105:106], s[34:35], -v[102:103]
	v_fma_f64 v[100:101], v[100:101], s[38:39], v[160:161]
	v_fma_f64 v[102:103], v[119:120], s[16:17], v[113:114]
	v_add_f64 v[160:161], v[76:77], v[164:165]
	v_fma_f64 v[164:165], v[117:118], s[16:17], -v[115:116]
	v_fma_f64 v[137:138], v[105:106], s[14:15], v[121:122]
	v_fma_f64 v[121:122], v[105:106], s[14:15], -v[121:122]
	v_add_f64 v[133:134], v[76:77], v[133:134]
	v_add_f64 v[135:136], v[78:79], v[135:136]
	v_fma_f64 v[166:167], v[119:120], s[18:19], v[74:75]
	v_fma_f64 v[168:169], v[162:163], s[36:37], v[96:97]
	v_add_f64 v[102:103], v[102:103], v[129:130]
	v_mul_f64 v[129:130], v[158:159], s[40:41]
	v_mul_f64 v[170:171], v[117:118], s[34:35]
	v_add_f64 v[131:132], v[164:165], v[131:132]
	v_mul_f64 v[164:165], v[158:159], s[28:29]
	v_add_f64 v[139:140], v[78:79], v[139:140]
	v_add_f64 v[121:122], v[76:77], v[121:122]
	;; [unrolled: 1-line block ×5, first 2 shown]
	v_fma_f64 v[74:75], v[119:120], s[18:19], -v[74:75]
	v_fma_f64 v[96:97], v[162:163], s[30:31], v[96:97]
	v_fma_f64 v[166:167], v[119:120], s[34:35], v[129:130]
	;; [unrolled: 1-line block ×3, first 2 shown]
	v_fma_f64 v[129:130], v[119:120], s[34:35], -v[129:130]
	v_mul_f64 v[172:173], v[117:118], s[14:15]
	v_fma_f64 v[170:171], v[162:163], s[40:41], v[170:171]
	v_fma_f64 v[174:175], v[119:120], s[14:15], v[164:165]
	s_mov_b32 s43, 0x3fe14ced
	s_mov_b32 s42, s26
	v_add_f64 v[137:138], v[76:77], v[137:138]
	v_add_f64 v[74:75], v[74:75], v[146:147]
	;; [unrolled: 1-line block ×5, first 2 shown]
	v_fma_f64 v[121:122], v[162:163], s[24:25], v[172:173]
	v_add_f64 v[146:147], v[170:171], v[123:124]
	v_add_f64 v[156:157], v[174:175], v[125:126]
	v_fma_f64 v[123:124], v[119:120], s[14:15], -v[164:165]
	v_fma_f64 v[164:165], v[162:163], s[28:29], v[172:173]
	v_mul_f64 v[158:159], v[158:159], s[42:43]
	v_add_f64 v[168:169], v[94:95], -v[70:71]
	v_add_f64 v[170:171], v[92:93], -v[68:69]
	v_mul_f64 v[172:173], v[117:118], s[4:5]
	v_add_f64 v[125:126], v[94:95], v[70:71]
	v_add_f64 v[72:73], v[78:79], v[72:73]
	;; [unrolled: 1-line block ×7, first 2 shown]
	v_fma_f64 v[94:95], v[119:120], s[4:5], v[158:159]
	v_add_f64 v[127:128], v[92:93], v[68:69]
	v_mul_f64 v[121:122], v[168:169], s[24:25]
	v_mul_f64 v[123:124], v[170:171], s[24:25]
	v_fma_f64 v[68:69], v[162:163], s[26:27], v[172:173]
	v_mul_f64 v[92:93], v[168:169], s[40:41]
	v_mul_f64 v[143:144], v[125:126], s[34:35]
	v_fma_f64 v[158:159], v[119:120], s[4:5], -v[158:159]
	v_add_f64 v[100:101], v[78:79], v[100:101]
	v_fma_f64 v[162:163], v[162:163], s[42:43], v[172:173]
	v_add_f64 v[94:95], v[94:95], v[160:161]
	v_fma_f64 v[160:161], v[127:128], s[14:15], v[121:122]
	v_fma_f64 v[164:165], v[125:126], s[14:15], -v[123:124]
	v_add_f64 v[68:69], v[68:69], v[72:73]
	v_fma_f64 v[72:73], v[127:128], s[34:35], v[92:93]
	v_fma_f64 v[172:173], v[170:171], s[38:39], v[143:144]
	v_add_f64 v[98:99], v[158:159], v[98:99]
	v_mul_f64 v[158:159], v[168:169], s[22:23]
	v_add_f64 v[100:101], v[162:163], v[100:101]
	v_add_f64 v[102:103], v[160:161], v[102:103]
	;; [unrolled: 1-line block ×3, first 2 shown]
	v_mul_f64 v[131:132], v[125:126], s[16:17]
	v_add_f64 v[72:73], v[72:73], v[133:134]
	v_add_f64 v[162:163], v[172:173], v[135:136]
	v_fma_f64 v[92:93], v[127:128], s[34:35], -v[92:93]
	v_fma_f64 v[133:134], v[170:171], s[40:41], v[143:144]
	v_fma_f64 v[135:136], v[127:128], s[16:17], v[158:159]
	v_mul_f64 v[143:144], v[168:169], s[26:27]
	v_mul_f64 v[164:165], v[125:126], s[4:5]
	v_fma_f64 v[172:173], v[170:171], s[20:21], v[131:132]
	v_fma_f64 v[158:159], v[127:128], s[16:17], -v[158:159]
	v_fma_f64 v[131:132], v[170:171], s[22:23], v[131:132]
	v_add_f64 v[74:75], v[92:93], v[74:75]
	v_add_f64 v[92:93], v[133:134], v[96:97]
	;; [unrolled: 1-line block ×3, first 2 shown]
	v_fma_f64 v[133:134], v[127:128], s[4:5], v[143:144]
	v_fma_f64 v[135:136], v[170:171], s[42:43], v[164:165]
	v_add_f64 v[137:138], v[172:173], v[139:140]
	v_add_f64 v[139:140], v[158:159], v[129:130]
	;; [unrolled: 1-line block ×3, first 2 shown]
	v_fma_f64 v[129:130], v[127:128], s[4:5], -v[143:144]
	v_fma_f64 v[131:132], v[170:171], s[26:27], v[164:165]
	v_mul_f64 v[143:144], v[168:169], s[30:31]
	v_add_f64 v[156:157], v[133:134], v[156:157]
	v_add_f64 v[158:159], v[135:136], v[166:167]
	v_add_f64 v[164:165], v[90:91], -v[66:67]
	v_mul_f64 v[166:167], v[125:126], s[18:19]
	v_add_f64 v[168:169], v[88:89], -v[64:65]
	v_add_f64 v[133:134], v[90:91], v[66:67]
	v_add_f64 v[141:142], v[129:130], v[141:142]
	;; [unrolled: 1-line block ×3, first 2 shown]
	v_fma_f64 v[172:173], v[127:128], s[18:19], v[143:144]
	v_add_f64 v[135:136], v[88:89], v[64:65]
	v_mul_f64 v[129:130], v[164:165], s[30:31]
	v_fma_f64 v[64:65], v[170:171], s[36:37], v[166:167]
	v_mul_f64 v[131:132], v[168:169], s[30:31]
	v_fma_f64 v[66:67], v[127:128], s[18:19], -v[143:144]
	v_fma_f64 v[88:89], v[170:171], s[30:31], v[166:167]
	v_mul_f64 v[90:91], v[164:165], s[28:29]
	v_mul_f64 v[143:144], v[133:134], s[14:15]
	;; [unrolled: 1-line block ×3, first 2 shown]
	v_fma_f64 v[166:167], v[135:136], s[18:19], v[129:130]
	v_add_f64 v[64:65], v[64:65], v[68:69]
	v_fma_f64 v[68:69], v[133:134], s[18:19], -v[131:132]
	v_add_f64 v[66:67], v[66:67], v[98:99]
	v_add_f64 v[88:89], v[88:89], v[100:101]
	v_fma_f64 v[98:99], v[135:136], s[14:15], v[90:91]
	v_fma_f64 v[100:101], v[168:169], s[24:25], v[143:144]
	v_fma_f64 v[90:91], v[135:136], s[14:15], -v[90:91]
	v_add_f64 v[102:103], v[166:167], v[102:103]
	v_mul_f64 v[166:167], v[133:134], s[4:5]
	v_add_f64 v[68:69], v[68:69], v[160:161]
	v_mul_f64 v[160:161], v[164:165], s[38:39]
	v_add_f64 v[94:95], v[172:173], v[94:95]
	v_add_f64 v[72:73], v[98:99], v[72:73]
	;; [unrolled: 1-line block ×3, first 2 shown]
	v_fma_f64 v[100:101], v[135:136], s[4:5], v[170:171]
	v_fma_f64 v[143:144], v[168:169], s[28:29], v[143:144]
	;; [unrolled: 1-line block ×3, first 2 shown]
	v_mul_f64 v[172:173], v[133:134], s[34:35]
	v_add_f64 v[90:91], v[90:91], v[74:75]
	v_fma_f64 v[74:75], v[135:136], s[4:5], -v[170:171]
	s_barrier
	v_add_f64 v[96:97], v[100:101], v[96:97]
	v_fma_f64 v[100:101], v[135:136], s[34:35], v[160:161]
	v_add_f64 v[92:93], v[143:144], v[92:93]
	v_fma_f64 v[143:144], v[168:169], s[26:27], v[166:167]
	;; [unrolled: 2-line block ×3, first 2 shown]
	v_fma_f64 v[160:161], v[135:136], s[34:35], -v[160:161]
	v_fma_f64 v[166:167], v[168:169], s[38:39], v[172:173]
	v_add_f64 v[170:171], v[74:75], v[139:140]
	v_mul_f64 v[74:75], v[164:165], s[22:23]
	v_add_f64 v[156:157], v[100:101], v[156:157]
	v_mul_f64 v[100:101], v[133:134], s[16:17]
	v_add_f64 v[172:173], v[80:81], -v[84:85]
	v_add_f64 v[139:140], v[82:83], v[86:87]
	v_add_f64 v[160:161], v[160:161], v[141:142]
	;; [unrolled: 1-line block ×3, first 2 shown]
	v_add_f64 v[166:167], v[82:83], -v[86:87]
	v_fma_f64 v[70:71], v[135:136], s[16:17], v[74:75]
	v_fma_f64 v[74:75], v[135:136], s[16:17], -v[74:75]
	v_fma_f64 v[86:87], v[168:169], s[22:23], v[100:101]
	v_mul_f64 v[141:142], v[172:173], s[38:39]
	v_add_f64 v[146:147], v[143:144], v[146:147]
	v_add_f64 v[143:144], v[80:81], v[84:85]
	v_mul_f64 v[84:85], v[139:140], s[4:5]
	v_mul_f64 v[80:81], v[166:167], s[42:43]
	v_add_f64 v[158:159], v[137:138], v[158:159]
	v_add_f64 v[174:175], v[74:75], v[66:67]
	;; [unrolled: 1-line block ×3, first 2 shown]
	v_fma_f64 v[66:67], v[139:140], s[34:35], -v[141:142]
	v_mul_f64 v[88:89], v[166:167], s[30:31]
	v_fma_f64 v[82:83], v[168:169], s[20:21], v[100:101]
	v_mul_f64 v[137:138], v[166:167], s[38:39]
	v_add_f64 v[168:169], v[70:71], v[94:95]
	v_fma_f64 v[70:71], v[143:144], s[4:5], v[80:81]
	v_mul_f64 v[94:95], v[139:140], s[18:19]
	v_fma_f64 v[80:81], v[143:144], s[4:5], -v[80:81]
	v_fma_f64 v[86:87], v[172:173], s[42:43], v[84:85]
	v_add_f64 v[66:67], v[66:67], v[68:69]
	v_fma_f64 v[68:69], v[143:144], s[18:19], v[88:89]
	v_add_f64 v[82:83], v[82:83], v[64:65]
	v_fma_f64 v[64:65], v[143:144], s[34:35], v[137:138]
	v_fma_f64 v[74:75], v[172:173], s[26:27], v[84:85]
	v_add_f64 v[72:73], v[70:71], v[72:73]
	v_fma_f64 v[70:71], v[172:173], s[36:37], v[94:95]
	v_add_f64 v[84:85], v[80:81], v[90:91]
	v_add_f64 v[86:87], v[86:87], v[92:93]
	v_fma_f64 v[80:81], v[143:144], s[18:19], -v[88:89]
	v_fma_f64 v[88:89], v[172:173], s[30:31], v[94:95]
	v_mul_f64 v[90:91], v[166:167], s[22:23]
	v_mul_f64 v[92:93], v[139:140], s[16:17]
	v_add_f64 v[68:69], v[68:69], v[96:97]
	v_mul_f64 v[94:95], v[166:167], s[24:25]
	v_mul_f64 v[96:97], v[139:140], s[14:15]
	v_add_f64 v[64:65], v[64:65], v[102:103]
	v_add_f64 v[74:75], v[74:75], v[98:99]
	;; [unrolled: 1-line block ×5, first 2 shown]
	v_fma_f64 v[80:81], v[143:144], s[16:17], v[90:91]
	v_fma_f64 v[88:89], v[172:173], s[20:21], v[92:93]
	v_fma_f64 v[90:91], v[143:144], s[16:17], -v[90:91]
	v_fma_f64 v[98:99], v[172:173], s[22:23], v[92:93]
	v_fma_f64 v[146:147], v[143:144], s[14:15], v[94:95]
	;; [unrolled: 1-line block ×3, first 2 shown]
	v_fma_f64 v[166:167], v[143:144], s[14:15], -v[94:95]
	v_fma_f64 v[170:171], v[172:173], s[24:25], v[96:97]
	v_add_f64 v[92:93], v[80:81], v[156:157]
	v_add_f64 v[94:95], v[88:89], v[158:159]
	;; [unrolled: 1-line block ×8, first 2 shown]
	s_and_saveexec_b64 s[20:21], s[0:1]
	s_cbranch_execz .LBB0_17
; %bb.16:
	v_mul_f64 v[107:108], v[107:108], s[4:5]
	v_mul_f64 v[105:106], v[105:106], s[4:5]
	;; [unrolled: 1-line block ×4, first 2 shown]
	v_add_f64 v[107:108], v[111:112], v[107:108]
	v_add_f64 v[105:106], v[105:106], -v[109:110]
	v_mul_f64 v[109:110], v[127:128], s[14:15]
	v_mul_f64 v[111:112], v[125:126], s[14:15]
	v_add_f64 v[115:116], v[115:116], v[117:118]
	v_add_f64 v[113:114], v[119:120], -v[113:114]
	v_add_f64 v[78:79], v[78:79], v[107:108]
	v_add_f64 v[76:77], v[76:77], v[105:106]
	v_mul_f64 v[105:106], v[135:136], s[18:19]
	v_mul_f64 v[107:108], v[133:134], s[18:19]
	v_add_f64 v[111:112], v[123:124], v[111:112]
	v_add_f64 v[109:110], v[109:110], -v[121:122]
	v_add_f64 v[78:79], v[115:116], v[78:79]
	v_add_f64 v[76:77], v[113:114], v[76:77]
	v_mul_f64 v[113:114], v[143:144], s[34:35]
	v_mul_f64 v[115:116], v[139:140], s[34:35]
	v_add_f64 v[107:108], v[131:132], v[107:108]
	v_add_f64 v[105:106], v[105:106], -v[129:130]
	v_add_f64 v[78:79], v[111:112], v[78:79]
	v_add_f64 v[76:77], v[109:110], v[76:77]
	v_add_f64 v[111:112], v[113:114], -v[137:138]
	v_add_f64 v[109:110], v[141:142], v[115:116]
	v_add_f64 v[78:79], v[107:108], v[78:79]
	;; [unrolled: 1-line block ×3, first 2 shown]
	v_lshl_add_u32 v105, v155, 4, v151
	ds_write_b128 v105, v[60:63]
	ds_write_b128 v105, v[64:67] offset:16
	v_add_f64 v[78:79], v[109:110], v[78:79]
	v_add_f64 v[76:77], v[111:112], v[76:77]
	ds_write_b128 v105, v[72:75] offset:32
	ds_write_b128 v105, v[68:71] offset:48
	;; [unrolled: 1-line block ×9, first 2 shown]
.LBB0_17:
	s_or_b64 exec, exec, s[20:21]
	s_waitcnt lgkmcnt(0)
	s_barrier
	s_and_saveexec_b64 s[4:5], s[2:3]
	s_cbranch_execz .LBB0_19
; %bb.18:
	ds_read_b128 v[60:63], v152
	ds_read_b128 v[64:67], v152 offset:1232
	ds_read_b128 v[72:75], v152 offset:2464
	;; [unrolled: 1-line block ×9, first 2 shown]
.LBB0_19:
	s_or_b64 exec, exec, s[4:5]
	s_waitcnt lgkmcnt(0)
	s_barrier
	s_and_saveexec_b64 s[4:5], s[2:3]
	s_cbranch_execz .LBB0_21
; %bb.20:
	v_mul_f64 v[76:77], v[10:11], v[92:93]
	v_mul_f64 v[78:79], v[26:27], v[96:97]
	v_mul_f64 v[105:106], v[22:23], v[72:73]
	v_mul_f64 v[107:108], v[34:35], v[100:101]
	v_mul_f64 v[22:23], v[22:23], v[74:75]
	v_mul_f64 v[34:35], v[34:35], v[102:103]
	v_mul_f64 v[10:11], v[10:11], v[94:95]
	v_mul_f64 v[26:27], v[26:27], v[98:99]
	v_fma_f64 v[76:77], v[8:9], v[94:95], -v[76:77]
	v_fma_f64 v[78:79], v[24:25], v[98:99], -v[78:79]
	;; [unrolled: 1-line block ×3, first 2 shown]
	v_mul_f64 v[98:99], v[30:31], v[86:87]
	v_fma_f64 v[20:21], v[20:21], v[72:73], v[22:23]
	v_fma_f64 v[22:23], v[32:33], v[100:101], v[34:35]
	v_mul_f64 v[34:35], v[18:19], v[82:83]
	v_mul_f64 v[72:73], v[14:15], v[90:91]
	v_fma_f64 v[8:9], v[8:9], v[92:93], v[10:11]
	v_fma_f64 v[10:11], v[24:25], v[96:97], v[26:27]
	v_mul_f64 v[96:97], v[6:7], v[70:71]
	v_mul_f64 v[6:7], v[6:7], v[68:69]
	;; [unrolled: 1-line block ×4, first 2 shown]
	v_fma_f64 v[34:35], v[16:17], v[80:81], v[34:35]
	v_fma_f64 v[72:73], v[12:13], v[88:89], v[72:73]
	v_mul_f64 v[18:19], v[18:19], v[80:81]
	v_mul_f64 v[14:15], v[14:15], v[88:89]
	v_fma_f64 v[68:69], v[4:5], v[68:69], v[96:97]
	v_fma_f64 v[80:81], v[28:29], v[84:85], v[98:99]
	v_fma_f64 v[4:5], v[4:5], v[70:71], -v[6:7]
	v_fma_f64 v[28:29], v[28:29], v[86:87], -v[30:31]
	v_mul_f64 v[2:3], v[2:3], v[64:65]
	v_fma_f64 v[84:85], v[0:1], v[64:65], v[100:101]
	v_add_f64 v[88:89], v[34:35], v[72:73]
	v_fma_f64 v[16:17], v[16:17], v[82:83], -v[18:19]
	v_fma_f64 v[12:13], v[12:13], v[90:91], -v[14:15]
	v_add_f64 v[90:91], v[34:35], -v[72:73]
	s_mov_b32 s2, 0x134454ff
	v_add_f64 v[64:65], v[4:5], v[28:29]
	v_fma_f64 v[0:1], v[0:1], v[66:67], -v[2:3]
	s_mov_b32 s3, 0xbfee6f0e
	v_fma_f64 v[18:19], v[88:89], -0.5, v[84:85]
	v_add_f64 v[82:83], v[4:5], -v[16:17]
	v_add_f64 v[2:3], v[16:17], v[12:13]
	v_add_f64 v[86:87], v[28:29], -v[12:13]
	v_add_f64 v[88:89], v[68:69], v[80:81]
	s_mov_b32 s19, 0x3fee6f0e
	v_fma_f64 v[64:65], v[64:65], -0.5, v[0:1]
	s_mov_b32 s18, s2
	v_add_f64 v[66:67], v[68:69], -v[80:81]
	v_add_f64 v[100:101], v[12:13], -v[28:29]
	v_fma_f64 v[2:3], v[2:3], -0.5, v[0:1]
	v_add_f64 v[82:83], v[82:83], v[86:87]
	v_fma_f64 v[86:87], v[88:89], -0.5, v[84:85]
	v_add_f64 v[88:89], v[16:17], -v[4:5]
	v_fma_f64 v[105:106], v[90:91], s[18:19], v[64:65]
	v_fma_f64 v[64:65], v[90:91], s[2:3], v[64:65]
	s_mov_b32 s14, 0x4755a5e
	s_mov_b32 s15, 0xbfe2cf23
	s_mov_b32 s21, 0x3fe2cf23
	s_mov_b32 s20, s14
	v_fma_f64 v[94:95], v[32:33], v[102:103], -v[107:108]
	v_add_f64 v[32:33], v[76:77], v[78:79]
	v_add_f64 v[6:7], v[68:69], -v[34:35]
	v_add_f64 v[14:15], v[80:81], -v[72:73]
	;; [unrolled: 1-line block ×3, first 2 shown]
	v_fma_f64 v[96:97], v[66:67], s[2:3], v[2:3]
	v_add_f64 v[88:89], v[88:89], v[100:101]
	v_fma_f64 v[100:101], v[66:67], s[14:15], v[105:106]
	v_fma_f64 v[64:65], v[66:67], s[20:21], v[64:65]
	;; [unrolled: 1-line block ×3, first 2 shown]
	v_add_f64 v[24:25], v[74:75], -v[76:77]
	v_add_f64 v[26:27], v[94:95], -v[78:79]
	;; [unrolled: 1-line block ×3, first 2 shown]
	v_fma_f64 v[32:33], v[32:33], -0.5, v[62:63]
	v_add_f64 v[14:15], v[6:7], v[14:15]
	v_fma_f64 v[6:7], v[30:31], s[18:19], v[18:19]
	v_add_f64 v[70:71], v[16:17], -v[12:13]
	v_fma_f64 v[18:19], v[30:31], s[2:3], v[18:19]
	v_fma_f64 v[66:67], v[90:91], s[20:21], v[66:67]
	v_add_f64 v[0:1], v[0:1], v[4:5]
	s_mov_b32 s16, 0x372fe950
	s_mov_b32 s17, 0x3fd3c6ef
	v_add_f64 v[102:103], v[8:9], -v[10:11]
	v_add_f64 v[24:25], v[24:25], v[26:27]
	v_fma_f64 v[26:27], v[92:93], s[2:3], v[32:33]
	v_add_f64 v[98:99], v[74:75], v[94:95]
	v_fma_f64 v[6:7], v[70:71], s[20:21], v[6:7]
	v_add_f64 v[107:108], v[34:35], -v[68:69]
	v_add_f64 v[109:110], v[72:73], -v[80:81]
	v_fma_f64 v[111:112], v[70:71], s[2:3], v[86:87]
	v_fma_f64 v[86:87], v[70:71], s[18:19], v[86:87]
	;; [unrolled: 1-line block ×4, first 2 shown]
	v_add_f64 v[70:71], v[8:9], v[10:11]
	v_fma_f64 v[4:5], v[82:83], s[16:17], v[66:67]
	v_fma_f64 v[96:97], v[90:91], s[14:15], v[96:97]
	v_add_f64 v[0:1], v[0:1], v[16:17]
	s_mov_b32 s24, 0x9b97f4a8
	s_mov_b32 s25, 0xbfe9e377
	;; [unrolled: 1-line block ×4, first 2 shown]
	v_fma_f64 v[26:27], v[102:103], s[14:15], v[26:27]
	v_fma_f64 v[98:99], v[98:99], -0.5, v[62:63]
	v_add_f64 v[105:106], v[76:77], -v[74:75]
	v_add_f64 v[107:108], v[107:108], v[109:110]
	v_fma_f64 v[109:110], v[30:31], s[20:21], v[111:112]
	v_fma_f64 v[111:112], v[14:15], s[16:17], v[6:7]
	v_add_f64 v[62:63], v[62:63], v[74:75]
	v_fma_f64 v[32:33], v[102:103], s[20:21], v[32:33]
	v_fma_f64 v[14:15], v[14:15], s[16:17], v[18:19]
	v_fma_f64 v[18:19], v[70:71], -0.5, v[60:61]
	v_add_f64 v[66:67], v[74:75], -v[94:95]
	v_mul_f64 v[16:17], v[4:5], s[26:27]
	v_add_f64 v[70:71], v[20:21], -v[8:9]
	v_add_f64 v[74:75], v[22:23], -v[10:11]
	v_add_f64 v[90:91], v[20:21], v[22:23]
	v_fma_f64 v[96:97], v[82:83], s[16:17], v[96:97]
	v_add_f64 v[0:1], v[0:1], v[12:13]
	v_fma_f64 v[26:27], v[24:25], s[16:17], v[26:27]
	v_fma_f64 v[24:25], v[24:25], s[16:17], v[32:33]
	;; [unrolled: 1-line block ×3, first 2 shown]
	v_add_f64 v[62:63], v[62:63], v[76:77]
	v_add_f64 v[12:13], v[70:71], v[74:75]
	v_fma_f64 v[16:17], v[90:91], -0.5, v[60:61]
	v_add_f64 v[74:75], v[8:9], -v[20:21]
	v_add_f64 v[20:21], v[60:61], v[20:21]
	v_add_f64 v[60:61], v[84:85], v[68:69]
	;; [unrolled: 1-line block ×3, first 2 shown]
	v_mul_f64 v[0:1], v[96:97], s[14:15]
	v_fma_f64 v[82:83], v[66:67], s[18:19], v[18:19]
	v_add_f64 v[76:77], v[76:77], -v[78:79]
	v_fma_f64 v[100:101], v[88:89], s[16:17], v[100:101]
	v_add_f64 v[113:114], v[78:79], -v[94:95]
	v_add_f64 v[8:9], v[20:21], v[8:9]
	v_add_f64 v[20:21], v[60:61], v[34:35]
	v_fma_f64 v[115:116], v[102:103], s[18:19], v[98:99]
	v_fma_f64 v[84:85], v[111:112], s[24:25], v[0:1]
	;; [unrolled: 1-line block ×7, first 2 shown]
	v_add_f64 v[82:83], v[10:11], -v[22:23]
	v_fma_f64 v[68:69], v[76:77], s[2:3], v[16:17]
	v_fma_f64 v[16:17], v[76:77], s[18:19], v[16:17]
	v_fma_f64 v[109:110], v[107:108], s[16:17], v[109:110]
	v_add_f64 v[62:63], v[62:63], v[78:79]
	v_mul_f64 v[60:61], v[100:101], s[2:3]
	v_add_f64 v[8:9], v[8:9], v[10:11]
	v_add_f64 v[10:11], v[20:21], v[72:73]
	v_fma_f64 v[0:1], v[76:77], s[14:15], v[0:1]
	v_mul_f64 v[4:5], v[4:5], s[14:15]
	v_add_f64 v[105:106], v[105:106], v[113:114]
	s_mov_b32 s23, 0xbfd3c6ef
	s_mov_b32 s22, s16
	v_fma_f64 v[98:99], v[92:93], s[20:21], v[98:99]
	v_fma_f64 v[30:31], v[107:108], s[16:17], v[30:31]
	v_mul_f64 v[88:89], v[64:65], s[16:17]
	v_add_f64 v[18:19], v[74:75], v[82:83]
	v_fma_f64 v[16:17], v[66:67], s[14:15], v[16:17]
	v_mul_f64 v[64:65], v[64:65], s[2:3]
	v_mul_f64 v[6:7], v[96:97], s[24:25]
	v_fma_f64 v[113:114], v[92:93], s[14:15], v[115:116]
	v_mul_f64 v[115:116], v[100:101], s[22:23]
	v_fma_f64 v[34:35], v[66:67], s[20:21], v[68:69]
	v_add_f64 v[62:63], v[62:63], v[94:95]
	v_fma_f64 v[66:67], v[109:110], s[22:23], v[60:61]
	v_add_f64 v[60:61], v[8:9], v[22:23]
	v_add_f64 v[76:77], v[10:11], v[80:81]
	v_fma_f64 v[72:73], v[12:13], s[16:17], v[0:1]
	v_fma_f64 v[74:75], v[14:15], s[26:27], v[4:5]
	;; [unrolled: 1-line block ×11, first 2 shown]
	v_add_f64 v[18:19], v[62:63], -v[28:29]
	v_add_f64 v[16:17], v[60:61], -v[76:77]
	v_add_f64 v[62:63], v[62:63], v[28:29]
	v_add_f64 v[60:61], v[60:61], v[76:77]
	v_add_f64 v[14:15], v[24:25], -v[32:33]
	v_add_f64 v[34:35], v[24:25], v[32:33]
	v_add_f64 v[32:33], v[72:73], v[74:75]
	;; [unrolled: 1-line block ×4, first 2 shown]
	v_add_f64 v[2:3], v[26:27], -v[117:118]
	v_add_f64 v[22:23], v[26:27], v[117:118]
	v_add_f64 v[26:27], v[113:114], v[115:116]
	;; [unrolled: 1-line block ×3, first 2 shown]
	v_add_f64 v[4:5], v[20:21], -v[66:67]
	v_add_f64 v[20:21], v[70:71], v[84:85]
	v_add_f64 v[8:9], v[68:69], -v[64:65]
	v_mul_u32_u24_e32 v64, 0x6e, v153
	v_add_f64 v[12:13], v[72:73], -v[74:75]
	v_add_u32_e32 v64, v64, v154
	v_add_f64 v[10:11], v[86:87], -v[78:79]
	v_lshl_add_u32 v64, v64, 4, v151
	v_add_f64 v[6:7], v[113:114], -v[115:116]
	v_add_f64 v[0:1], v[70:71], -v[84:85]
	ds_write_b128 v64, v[60:63]
	ds_write_b128 v64, v[32:35] offset:176
	ds_write_b128 v64, v[28:31] offset:352
	;; [unrolled: 1-line block ×9, first 2 shown]
.LBB0_21:
	s_or_b64 exec, exec, s[4:5]
	s_waitcnt lgkmcnt(0)
	s_barrier
	ds_read_b128 v[0:3], v152 offset:1760
	ds_read_b128 v[4:7], v152 offset:3520
	ds_read_b128 v[8:11], v152 offset:5280
	ds_read_b128 v[12:15], v152
	ds_read_b128 v[16:19], v152 offset:7040
	ds_read_b128 v[20:23], v152 offset:8800
	;; [unrolled: 1-line block ×3, first 2 shown]
	s_mov_b32 s2, 0x37e14327
	s_waitcnt lgkmcnt(6)
	v_mul_f64 v[28:29], v[50:51], v[2:3]
	v_mul_f64 v[30:31], v[50:51], v[0:1]
	s_waitcnt lgkmcnt(5)
	v_mul_f64 v[32:33], v[46:47], v[6:7]
	v_mul_f64 v[34:35], v[46:47], v[4:5]
	s_waitcnt lgkmcnt(2)
	v_mul_f64 v[46:47], v[38:39], v[18:19]
	v_mul_f64 v[38:39], v[38:39], v[16:17]
	s_mov_b32 s3, 0x3fe948f6
	s_mov_b32 s4, 0xe976ee23
	v_fma_f64 v[0:1], v[48:49], v[0:1], v[28:29]
	v_fma_f64 v[2:3], v[48:49], v[2:3], -v[30:31]
	v_fma_f64 v[4:5], v[44:45], v[4:5], v[32:33]
	v_fma_f64 v[6:7], v[44:45], v[6:7], -v[34:35]
	s_waitcnt lgkmcnt(0)
	v_mul_f64 v[28:29], v[54:55], v[26:27]
	v_mul_f64 v[30:31], v[54:55], v[24:25]
	;; [unrolled: 1-line block ×6, first 2 shown]
	v_fma_f64 v[16:17], v[36:37], v[16:17], v[46:47]
	v_fma_f64 v[18:19], v[36:37], v[18:19], -v[38:39]
	v_fma_f64 v[24:25], v[52:53], v[24:25], v[28:29]
	v_fma_f64 v[26:27], v[52:53], v[26:27], -v[30:31]
	;; [unrolled: 2-line block ×4, first 2 shown]
	s_mov_b32 s5, 0x3fe11646
	s_mov_b32 s14, 0xaaaaaaaa
	v_add_f64 v[28:29], v[0:1], v[24:25]
	v_add_f64 v[30:31], v[2:3], v[26:27]
	v_add_f64 v[0:1], v[0:1], -v[24:25]
	v_add_f64 v[2:3], v[2:3], -v[26:27]
	v_add_f64 v[24:25], v[4:5], v[20:21]
	v_add_f64 v[26:27], v[6:7], v[22:23]
	v_add_f64 v[4:5], v[4:5], -v[20:21]
	v_add_f64 v[6:7], v[6:7], -v[22:23]
	v_add_f64 v[20:21], v[8:9], v[16:17]
	v_add_f64 v[22:23], v[10:11], v[18:19]
	v_add_f64 v[8:9], v[16:17], -v[8:9]
	v_add_f64 v[10:11], v[18:19], -v[10:11]
	v_add_f64 v[16:17], v[24:25], v[28:29]
	v_add_f64 v[18:19], v[26:27], v[30:31]
	v_add_f64 v[32:33], v[24:25], -v[28:29]
	v_add_f64 v[34:35], v[26:27], -v[30:31]
	v_add_f64 v[28:29], v[28:29], -v[20:21]
	v_add_f64 v[30:31], v[30:31], -v[22:23]
	v_add_f64 v[36:37], v[8:9], v[4:5]
	v_add_f64 v[38:39], v[10:11], v[6:7]
	;; [unrolled: 1-line block ×4, first 2 shown]
	v_add_f64 v[24:25], v[20:21], -v[24:25]
	v_add_f64 v[26:27], v[22:23], -v[26:27]
	v_add_f64 v[40:41], v[8:9], -v[4:5]
	v_add_f64 v[42:43], v[10:11], -v[6:7]
	v_add_f64 v[4:5], v[4:5], -v[0:1]
	v_add_f64 v[6:7], v[6:7], -v[2:3]
	v_add_f64 v[8:9], v[0:1], -v[8:9]
	v_add_f64 v[10:11], v[2:3], -v[10:11]
	v_add_f64 v[20:21], v[36:37], v[0:1]
	v_add_f64 v[22:23], v[38:39], v[2:3]
	;; [unrolled: 1-line block ×4, first 2 shown]
	v_mul_f64 v[12:13], v[28:29], s[2:3]
	v_mul_f64 v[14:15], v[30:31], s[2:3]
	s_mov_b32 s2, 0x36b3c0b5
	s_mov_b32 s3, 0x3fac98ee
	v_mul_f64 v[28:29], v[24:25], s[2:3]
	v_mul_f64 v[30:31], v[26:27], s[2:3]
	;; [unrolled: 1-line block ×4, first 2 shown]
	s_mov_b32 s4, 0x429ad128
	s_mov_b32 s5, 0xbfebfeb5
	v_mul_f64 v[40:41], v[4:5], s[4:5]
	v_mul_f64 v[42:43], v[6:7], s[4:5]
	v_fma_f64 v[24:25], v[24:25], s[2:3], v[12:13]
	v_fma_f64 v[26:27], v[26:27], s[2:3], v[14:15]
	s_mov_b32 s3, 0x3fe77f67
	s_mov_b32 s2, 0x5476071b
	v_fma_f64 v[28:29], v[32:33], s[2:3], -v[28:29]
	v_fma_f64 v[30:31], v[34:35], s[2:3], -v[30:31]
	s_mov_b32 s3, 0xbfe77f67
	s_mov_b32 s15, 0xbff2aaaa
	v_fma_f64 v[12:13], v[32:33], s[2:3], -v[12:13]
	v_fma_f64 v[14:15], v[34:35], s[2:3], -v[14:15]
	s_mov_b32 s3, 0xbfd5d0dc
	s_mov_b32 s2, 0xb247c609
	v_fma_f64 v[16:17], v[16:17], s[14:15], v[0:1]
	v_fma_f64 v[18:19], v[18:19], s[14:15], v[2:3]
	;; [unrolled: 1-line block ×4, first 2 shown]
	s_mov_b32 s3, 0x3fd5d0dc
	v_fma_f64 v[8:9], v[8:9], s[2:3], -v[40:41]
	v_fma_f64 v[10:11], v[10:11], s[2:3], -v[42:43]
	;; [unrolled: 1-line block ×4, first 2 shown]
	s_mov_b32 s2, 0x37c3f68c
	s_mov_b32 s3, 0xbfdc38aa
	v_add_f64 v[24:25], v[24:25], v[16:17]
	v_add_f64 v[26:27], v[26:27], v[18:19]
	v_fma_f64 v[34:35], v[22:23], s[2:3], v[34:35]
	v_fma_f64 v[32:33], v[20:21], s[2:3], v[32:33]
	v_add_f64 v[36:37], v[12:13], v[16:17]
	v_add_f64 v[38:39], v[14:15], v[18:19]
	v_fma_f64 v[40:41], v[22:23], s[2:3], v[10:11]
	v_fma_f64 v[42:43], v[20:21], s[2:3], v[8:9]
	;; [unrolled: 4-line block ×3, first 2 shown]
	v_add_f64 v[4:5], v[34:35], v[24:25]
	v_add_f64 v[6:7], v[26:27], -v[32:33]
	v_add_f64 v[8:9], v[40:41], v[36:37]
	v_add_f64 v[10:11], v[38:39], -v[42:43]
	v_add_f64 v[20:21], v[36:37], -v[40:41]
	v_add_f64 v[22:23], v[42:43], v[38:39]
	v_add_f64 v[12:13], v[28:29], -v[16:17]
	v_add_f64 v[14:15], v[18:19], v[30:31]
	v_add_f64 v[16:17], v[16:17], v[28:29]
	v_add_f64 v[18:19], v[30:31], -v[18:19]
	v_add_f64 v[24:25], v[24:25], -v[34:35]
	v_add_f64 v[26:27], v[32:33], v[26:27]
	ds_write_b128 v145, v[0:3]
	ds_write_b128 v145, v[4:7] offset:1760
	ds_write_b128 v145, v[8:11] offset:3520
	ds_write_b128 v145, v[12:15] offset:5280
	ds_write_b128 v145, v[16:19] offset:7040
	ds_write_b128 v145, v[20:23] offset:8800
	ds_write_b128 v145, v[24:27] offset:10560
	s_waitcnt lgkmcnt(0)
	s_barrier
	s_and_b64 exec, exec, s[0:1]
	s_cbranch_execz .LBB0_23
; %bb.22:
	v_mov_b32_e32 v0, s13
	v_add_co_u32_e32 v54, vcc, s12, v150
	v_addc_co_u32_e32 v55, vcc, 0, v0, vcc
	global_load_dwordx4 v[0:3], v150, s[12:13]
	global_load_dwordx4 v[4:7], v150, s[12:13] offset:1120
	global_load_dwordx4 v[8:11], v150, s[12:13] offset:2240
	;; [unrolled: 1-line block ×3, first 2 shown]
	s_movk_i32 s0, 0x1000
	v_add_co_u32_e32 v52, vcc, s0, v54
	v_addc_co_u32_e32 v53, vcc, 0, v55, vcc
	global_load_dwordx4 v[16:19], v[52:53], off offset:384
	global_load_dwordx4 v[20:23], v[52:53], off offset:1504
	ds_read_b128 v[24:27], v145
	ds_read_b128 v[28:31], v145 offset:1120
	ds_read_b128 v[32:35], v145 offset:2240
	;; [unrolled: 1-line block ×5, first 2 shown]
	global_load_dwordx4 v[48:51], v[52:53], off offset:2624
	s_movk_i32 s5, 0x2000
	v_add_co_u32_e32 v72, vcc, s5, v54
	v_addc_co_u32_e32 v73, vcc, 0, v55, vcc
	global_load_dwordx4 v[52:55], v[52:53], off offset:3744
	v_mad_u64_u32 v[68:69], s[0:1], s10, v104, 0
	v_mad_u64_u32 v[70:71], s[2:3], s8, v149, 0
	s_mul_i32 s3, s9, 0x460
	s_mul_hi_u32 s4, s8, 0x460
	v_mov_b32_e32 v56, v69
	v_mov_b32_e32 v57, v71
	s_add_i32 s3, s4, s3
	v_mad_u64_u32 v[74:75], s[4:5], s11, v104, v[56:57]
	v_mad_u64_u32 v[75:76], s[4:5], s9, v149, v[57:58]
	global_load_dwordx4 v[56:59], v[72:73], off offset:768
	global_load_dwordx4 v[60:63], v[72:73], off offset:1888
	;; [unrolled: 1-line block ×3, first 2 shown]
	v_mov_b32_e32 v69, v74
	v_lshlrev_b64 v[68:69], 4, v[68:69]
	v_mov_b32_e32 v71, v75
	v_mov_b32_e32 v77, s7
	v_lshlrev_b64 v[70:71], 4, v[70:71]
	v_add_co_u32_e32 v68, vcc, s6, v68
	v_addc_co_u32_e32 v69, vcc, v77, v69, vcc
	v_add_co_u32_e32 v68, vcc, v68, v70
	s_mul_i32 s2, s8, 0x460
	v_addc_co_u32_e32 v69, vcc, v69, v71, vcc
	v_mov_b32_e32 v78, s3
	v_add_co_u32_e32 v70, vcc, s2, v68
	v_addc_co_u32_e32 v71, vcc, v69, v78, vcc
	v_mov_b32_e32 v79, s3
	v_add_co_u32_e32 v72, vcc, s2, v70
	v_addc_co_u32_e32 v73, vcc, v71, v79, vcc
	s_mov_b32 s0, 0xe6bb82fe
	s_mov_b32 s1, 0x3f554725
	v_mov_b32_e32 v86, s3
	s_waitcnt vmcnt(10) lgkmcnt(5)
	v_mul_f64 v[74:75], v[26:27], v[2:3]
	v_mul_f64 v[2:3], v[24:25], v[2:3]
	s_waitcnt vmcnt(9) lgkmcnt(4)
	v_mul_f64 v[76:77], v[30:31], v[6:7]
	v_mul_f64 v[6:7], v[28:29], v[6:7]
	;; [unrolled: 3-line block ×4, first 2 shown]
	v_fma_f64 v[24:25], v[24:25], v[0:1], v[74:75]
	v_fma_f64 v[2:3], v[0:1], v[26:27], -v[2:3]
	v_fma_f64 v[26:27], v[28:29], v[4:5], v[76:77]
	v_fma_f64 v[6:7], v[4:5], v[30:31], -v[6:7]
	;; [unrolled: 2-line block ×3, first 2 shown]
	s_waitcnt vmcnt(6) lgkmcnt(1)
	v_mul_f64 v[82:83], v[42:43], v[18:19]
	v_mul_f64 v[18:19], v[40:41], v[18:19]
	v_fma_f64 v[30:31], v[36:37], v[12:13], v[80:81]
	v_fma_f64 v[14:15], v[12:13], v[38:39], -v[14:15]
	v_mul_f64 v[0:1], v[24:25], s[0:1]
	v_mul_f64 v[2:3], v[2:3], s[0:1]
	;; [unrolled: 1-line block ×6, first 2 shown]
	s_waitcnt vmcnt(5) lgkmcnt(0)
	v_mul_f64 v[84:85], v[46:47], v[22:23]
	v_mul_f64 v[22:23], v[44:45], v[22:23]
	v_fma_f64 v[24:25], v[40:41], v[16:17], v[82:83]
	v_fma_f64 v[16:17], v[16:17], v[42:43], -v[18:19]
	v_mul_f64 v[12:13], v[30:31], s[0:1]
	v_mul_f64 v[14:15], v[14:15], s[0:1]
	global_store_dwordx4 v[68:69], v[0:3], off
	global_store_dwordx4 v[70:71], v[4:7], off
	;; [unrolled: 1-line block ×3, first 2 shown]
	ds_read_b128 v[4:7], v145 offset:6720
	ds_read_b128 v[8:11], v145 offset:7840
	v_add_co_u32_e32 v18, vcc, s2, v72
	v_addc_co_u32_e32 v19, vcc, v73, v86, vcc
	global_store_dwordx4 v[18:19], v[12:15], off
	v_mul_f64 v[0:1], v[24:25], s[0:1]
	v_mul_f64 v[2:3], v[16:17], s[0:1]
	v_fma_f64 v[12:13], v[44:45], v[20:21], v[84:85]
	v_fma_f64 v[14:15], v[20:21], v[46:47], -v[22:23]
	s_waitcnt vmcnt(8) lgkmcnt(1)
	v_mul_f64 v[16:17], v[6:7], v[50:51]
	v_mul_f64 v[20:21], v[4:5], v[50:51]
	v_mov_b32_e32 v24, s3
	v_add_co_u32_e32 v18, vcc, s2, v18
	v_addc_co_u32_e32 v19, vcc, v19, v24, vcc
	global_store_dwordx4 v[18:19], v[0:3], off
	v_fma_f64 v[4:5], v[4:5], v[48:49], v[16:17]
	v_mul_f64 v[0:1], v[12:13], s[0:1]
	v_mul_f64 v[2:3], v[14:15], s[0:1]
	v_fma_f64 v[6:7], v[48:49], v[6:7], -v[20:21]
	s_waitcnt vmcnt(8) lgkmcnt(0)
	v_mul_f64 v[12:13], v[10:11], v[54:55]
	v_mul_f64 v[14:15], v[8:9], v[54:55]
	v_mov_b32_e32 v22, s3
	v_add_co_u32_e32 v16, vcc, s2, v18
	v_addc_co_u32_e32 v17, vcc, v19, v22, vcc
	global_store_dwordx4 v[16:17], v[0:3], off
	v_fma_f64 v[12:13], v[8:9], v[52:53], v[12:13]
	v_mul_f64 v[0:1], v[4:5], s[0:1]
	v_mul_f64 v[2:3], v[6:7], s[0:1]
	ds_read_b128 v[4:7], v145 offset:8960
	v_fma_f64 v[14:15], v[52:53], v[10:11], -v[14:15]
	ds_read_b128 v[8:11], v145 offset:10080
	v_add_co_u32_e32 v16, vcc, s2, v16
	s_waitcnt vmcnt(8) lgkmcnt(1)
	v_mul_f64 v[18:19], v[6:7], v[58:59]
	v_mul_f64 v[20:21], v[4:5], v[58:59]
	v_addc_co_u32_e32 v17, vcc, v17, v22, vcc
	global_store_dwordx4 v[16:17], v[0:3], off
	v_add_co_u32_e32 v16, vcc, s2, v16
	v_mul_f64 v[0:1], v[12:13], s[0:1]
	v_mul_f64 v[2:3], v[14:15], s[0:1]
	v_fma_f64 v[12:13], v[4:5], v[56:57], v[18:19]
	v_fma_f64 v[14:15], v[56:57], v[6:7], -v[20:21]
	ds_read_b128 v[4:7], v145 offset:11200
	s_waitcnt vmcnt(8) lgkmcnt(1)
	v_mul_f64 v[18:19], v[10:11], v[62:63]
	v_mul_f64 v[20:21], v[8:9], v[62:63]
	v_addc_co_u32_e32 v17, vcc, v17, v22, vcc
	s_waitcnt vmcnt(7) lgkmcnt(0)
	v_mul_f64 v[22:23], v[6:7], v[66:67]
	v_mul_f64 v[24:25], v[4:5], v[66:67]
	global_store_dwordx4 v[16:17], v[0:3], off
	v_fma_f64 v[8:9], v[8:9], v[60:61], v[18:19]
	v_mul_f64 v[0:1], v[12:13], s[0:1]
	v_mul_f64 v[2:3], v[14:15], s[0:1]
	v_fma_f64 v[10:11], v[60:61], v[10:11], -v[20:21]
	v_fma_f64 v[4:5], v[4:5], v[64:65], v[22:23]
	v_fma_f64 v[6:7], v[64:65], v[6:7], -v[24:25]
	v_mov_b32_e32 v13, s3
	v_add_co_u32_e32 v12, vcc, s2, v16
	v_addc_co_u32_e32 v13, vcc, v17, v13, vcc
	global_store_dwordx4 v[12:13], v[0:3], off
	v_mul_f64 v[4:5], v[4:5], s[0:1]
	v_mul_f64 v[0:1], v[8:9], s[0:1]
	;; [unrolled: 1-line block ×4, first 2 shown]
	v_mov_b32_e32 v9, s3
	v_add_co_u32_e32 v8, vcc, s2, v12
	v_addc_co_u32_e32 v9, vcc, v13, v9, vcc
	global_store_dwordx4 v[8:9], v[0:3], off
	s_nop 0
	v_mov_b32_e32 v1, s3
	v_add_co_u32_e32 v0, vcc, s2, v8
	v_addc_co_u32_e32 v1, vcc, v9, v1, vcc
	global_store_dwordx4 v[0:1], v[4:7], off
.LBB0_23:
	s_endpgm
	.section	.rodata,"a",@progbits
	.p2align	6, 0x0
	.amdhsa_kernel bluestein_single_back_len770_dim1_dp_op_CI_CI
		.amdhsa_group_segment_fixed_size 24640
		.amdhsa_private_segment_fixed_size 0
		.amdhsa_kernarg_size 104
		.amdhsa_user_sgpr_count 6
		.amdhsa_user_sgpr_private_segment_buffer 1
		.amdhsa_user_sgpr_dispatch_ptr 0
		.amdhsa_user_sgpr_queue_ptr 0
		.amdhsa_user_sgpr_kernarg_segment_ptr 1
		.amdhsa_user_sgpr_dispatch_id 0
		.amdhsa_user_sgpr_flat_scratch_init 0
		.amdhsa_user_sgpr_private_segment_size 0
		.amdhsa_uses_dynamic_stack 0
		.amdhsa_system_sgpr_private_segment_wavefront_offset 0
		.amdhsa_system_sgpr_workgroup_id_x 1
		.amdhsa_system_sgpr_workgroup_id_y 0
		.amdhsa_system_sgpr_workgroup_id_z 0
		.amdhsa_system_sgpr_workgroup_info 0
		.amdhsa_system_vgpr_workitem_id 0
		.amdhsa_next_free_vgpr 224
		.amdhsa_next_free_sgpr 44
		.amdhsa_reserve_vcc 1
		.amdhsa_reserve_flat_scratch 0
		.amdhsa_float_round_mode_32 0
		.amdhsa_float_round_mode_16_64 0
		.amdhsa_float_denorm_mode_32 3
		.amdhsa_float_denorm_mode_16_64 3
		.amdhsa_dx10_clamp 1
		.amdhsa_ieee_mode 1
		.amdhsa_fp16_overflow 0
		.amdhsa_exception_fp_ieee_invalid_op 0
		.amdhsa_exception_fp_denorm_src 0
		.amdhsa_exception_fp_ieee_div_zero 0
		.amdhsa_exception_fp_ieee_overflow 0
		.amdhsa_exception_fp_ieee_underflow 0
		.amdhsa_exception_fp_ieee_inexact 0
		.amdhsa_exception_int_div_zero 0
	.end_amdhsa_kernel
	.text
.Lfunc_end0:
	.size	bluestein_single_back_len770_dim1_dp_op_CI_CI, .Lfunc_end0-bluestein_single_back_len770_dim1_dp_op_CI_CI
                                        ; -- End function
	.section	.AMDGPU.csdata,"",@progbits
; Kernel info:
; codeLenInByte = 14792
; NumSgprs: 48
; NumVgprs: 224
; ScratchSize: 0
; MemoryBound: 0
; FloatMode: 240
; IeeeMode: 1
; LDSByteSize: 24640 bytes/workgroup (compile time only)
; SGPRBlocks: 5
; VGPRBlocks: 55
; NumSGPRsForWavesPerEU: 48
; NumVGPRsForWavesPerEU: 224
; Occupancy: 1
; WaveLimiterHint : 1
; COMPUTE_PGM_RSRC2:SCRATCH_EN: 0
; COMPUTE_PGM_RSRC2:USER_SGPR: 6
; COMPUTE_PGM_RSRC2:TRAP_HANDLER: 0
; COMPUTE_PGM_RSRC2:TGID_X_EN: 1
; COMPUTE_PGM_RSRC2:TGID_Y_EN: 0
; COMPUTE_PGM_RSRC2:TGID_Z_EN: 0
; COMPUTE_PGM_RSRC2:TIDIG_COMP_CNT: 0
	.type	__hip_cuid_47804e2dbb209db5,@object ; @__hip_cuid_47804e2dbb209db5
	.section	.bss,"aw",@nobits
	.globl	__hip_cuid_47804e2dbb209db5
__hip_cuid_47804e2dbb209db5:
	.byte	0                               ; 0x0
	.size	__hip_cuid_47804e2dbb209db5, 1

	.ident	"AMD clang version 19.0.0git (https://github.com/RadeonOpenCompute/llvm-project roc-6.4.0 25133 c7fe45cf4b819c5991fe208aaa96edf142730f1d)"
	.section	".note.GNU-stack","",@progbits
	.addrsig
	.addrsig_sym __hip_cuid_47804e2dbb209db5
	.amdgpu_metadata
---
amdhsa.kernels:
  - .args:
      - .actual_access:  read_only
        .address_space:  global
        .offset:         0
        .size:           8
        .value_kind:     global_buffer
      - .actual_access:  read_only
        .address_space:  global
        .offset:         8
        .size:           8
        .value_kind:     global_buffer
      - .actual_access:  read_only
        .address_space:  global
        .offset:         16
        .size:           8
        .value_kind:     global_buffer
      - .actual_access:  read_only
        .address_space:  global
        .offset:         24
        .size:           8
        .value_kind:     global_buffer
      - .actual_access:  read_only
        .address_space:  global
        .offset:         32
        .size:           8
        .value_kind:     global_buffer
      - .offset:         40
        .size:           8
        .value_kind:     by_value
      - .address_space:  global
        .offset:         48
        .size:           8
        .value_kind:     global_buffer
      - .address_space:  global
        .offset:         56
        .size:           8
        .value_kind:     global_buffer
      - .address_space:  global
        .offset:         64
        .size:           8
        .value_kind:     global_buffer
      - .address_space:  global
        .offset:         72
        .size:           8
        .value_kind:     global_buffer
      - .offset:         80
        .size:           4
        .value_kind:     by_value
      - .address_space:  global
        .offset:         88
        .size:           8
        .value_kind:     global_buffer
      - .address_space:  global
        .offset:         96
        .size:           8
        .value_kind:     global_buffer
    .group_segment_fixed_size: 24640
    .kernarg_segment_align: 8
    .kernarg_segment_size: 104
    .language:       OpenCL C
    .language_version:
      - 2
      - 0
    .max_flat_workgroup_size: 220
    .name:           bluestein_single_back_len770_dim1_dp_op_CI_CI
    .private_segment_fixed_size: 0
    .sgpr_count:     48
    .sgpr_spill_count: 0
    .symbol:         bluestein_single_back_len770_dim1_dp_op_CI_CI.kd
    .uniform_work_group_size: 1
    .uses_dynamic_stack: false
    .vgpr_count:     224
    .vgpr_spill_count: 0
    .wavefront_size: 64
amdhsa.target:   amdgcn-amd-amdhsa--gfx906
amdhsa.version:
  - 1
  - 2
...

	.end_amdgpu_metadata
